;; amdgpu-corpus repo=ggml-org/llama.cpp kind=compiled arch=gfx1201 opt=O3
	.amdgcn_target "amdgcn-amd-amdhsa--gfx1201"
	.amdhsa_code_object_version 6
	.section	.text._ZL15flash_attn_tileILi192ELi128ELi2ELi16ELb0EEvPKcS1_S1_S1_S1_PKiPfP15HIP_vector_typeIfLj2EEffffjfiS5_IjLj3EEiiiiiiiiiiiliiliiiiil,"axG",@progbits,_ZL15flash_attn_tileILi192ELi128ELi2ELi16ELb0EEvPKcS1_S1_S1_S1_PKiPfP15HIP_vector_typeIfLj2EEffffjfiS5_IjLj3EEiiiiiiiiiiiliiliiiiil,comdat
	.globl	_ZL15flash_attn_tileILi192ELi128ELi2ELi16ELb0EEvPKcS1_S1_S1_S1_PKiPfP15HIP_vector_typeIfLj2EEffffjfiS5_IjLj3EEiiiiiiiiiiiliiliiiiil ; -- Begin function _ZL15flash_attn_tileILi192ELi128ELi2ELi16ELb0EEvPKcS1_S1_S1_S1_PKiPfP15HIP_vector_typeIfLj2EEffffjfiS5_IjLj3EEiiiiiiiiiiiliiliiiiil
	.p2align	8
	.type	_ZL15flash_attn_tileILi192ELi128ELi2ELi16ELb0EEvPKcS1_S1_S1_S1_PKiPfP15HIP_vector_typeIfLj2EEffffjfiS5_IjLj3EEiiiiiiiiiiiliiliiiiil,@function
_ZL15flash_attn_tileILi192ELi128ELi2ELi16ELb0EEvPKcS1_S1_S1_S1_PKiPfP15HIP_vector_typeIfLj2EEffffjfiS5_IjLj3EEiiiiiiiiiiiliiliiiiil: ; @_ZL15flash_attn_tileILi192ELi128ELi2ELi16ELb0EEvPKcS1_S1_S1_S1_PKiPfP15HIP_vector_typeIfLj2EEffffjfiS5_IjLj3EEiiiiiiiiiiiliiliiiiil
; %bb.0:
	s_clause 0x1
	s_load_b128 s[24:27], s[0:1], 0x5c
	s_load_b64 s[34:35], s[0:1], 0x80
	s_lshr_b32 s5, ttmp7, 16
	s_clause 0x1
	s_load_b512 s[36:51], s[0:1], 0x0
	s_load_b64 s[8:9], s[0:1], 0xb8
	s_mov_b64 s[52:53], 0
	s_wait_kmcnt 0x0
	s_ashr_i32 s2, s27, 31
	s_delay_alu instid0(SALU_CYCLE_1) | instskip(NEXT) | instid1(SALU_CYCLE_1)
	s_lshr_b32 s2, s2, 28
	s_add_co_i32 s2, s27, s2
	s_delay_alu instid0(SALU_CYCLE_1) | instskip(NEXT) | instid1(SALU_CYCLE_1)
	s_ashr_i32 s2, s2, 4
	s_cvt_f32_u32 s3, s2
	s_sub_co_i32 s4, 0, s2
	s_delay_alu instid0(SALU_CYCLE_2) | instskip(NEXT) | instid1(TRANS32_DEP_1)
	v_rcp_iflag_f32_e32 v1, s3
	v_readfirstlane_b32 s3, v1
	s_mul_f32 s3, s3, 0x4f7ffffe
	s_wait_alu 0xfffe
	s_delay_alu instid0(SALU_CYCLE_2) | instskip(SKIP_1) | instid1(SALU_CYCLE_2)
	s_cvt_u32_f32 s3, s3
	s_wait_alu 0xfffe
	s_mul_i32 s4, s4, s3
	s_delay_alu instid0(SALU_CYCLE_1) | instskip(NEXT) | instid1(SALU_CYCLE_1)
	s_mul_hi_u32 s4, s3, s4
	s_add_co_i32 s3, s3, s4
	s_wait_alu 0xfffe
	s_mul_hi_u32 s3, s5, s3
	s_wait_alu 0xfffe
	s_mul_i32 s4, s3, s2
	s_add_co_i32 s6, s3, 1
	s_sub_co_i32 s4, s5, s4
	s_delay_alu instid0(SALU_CYCLE_1)
	s_sub_co_i32 s7, s4, s2
	s_cmp_ge_u32 s4, s2
	s_cselect_b32 s3, s6, s3
	s_cselect_b32 s4, s7, s4
	s_wait_alu 0xfffe
	s_add_co_i32 s6, s3, 1
	s_cmp_ge_u32 s4, s2
	s_cselect_b32 s28, s6, s3
	s_abs_i32 s2, s35
	s_abs_i32 s7, s27
	s_wait_alu 0xfffe
	s_cvt_f32_u32 s3, s2
	s_sub_co_i32 s4, 0, s2
	s_lshl_b32 s5, s5, 4
	s_mul_i32 s6, s28, s27
	s_wait_alu 0xfffe
	v_rcp_iflag_f32_e32 v1, s3
	s_sub_co_i32 s31, s5, s6
	s_delay_alu instid0(TRANS32_DEP_1) | instskip(SKIP_2) | instid1(SALU_CYCLE_2)
	v_readfirstlane_b32 s3, v1
	s_mul_f32 s3, s3, 0x4f7ffffe
	s_wait_alu 0xfffe
	s_cvt_u32_f32 s3, s3
	s_wait_alu 0xfffe
	s_delay_alu instid0(SALU_CYCLE_2) | instskip(NEXT) | instid1(SALU_CYCLE_1)
	s_mul_i32 s4, s4, s3
	s_mul_hi_u32 s4, s3, s4
	s_delay_alu instid0(SALU_CYCLE_1)
	s_add_co_i32 s3, s3, s4
	s_xor_b32 s4, s27, s35
	s_wait_alu 0xfffe
	s_mul_hi_u32 s3, s7, s3
	s_ashr_i32 s4, s4, 31
	s_wait_alu 0xfffe
	s_mul_i32 s5, s3, s2
	s_add_co_i32 s6, s3, 1
	s_sub_co_i32 s5, s7, s5
	s_delay_alu instid0(SALU_CYCLE_1)
	s_sub_co_i32 s7, s5, s2
	s_cmp_ge_u32 s5, s2
	s_cselect_b32 s3, s6, s3
	s_cselect_b32 s5, s7, s5
	s_wait_alu 0xfffe
	s_add_co_i32 s6, s3, 1
	s_cmp_ge_u32 s5, s2
	s_cselect_b32 s2, s6, s3
	s_mov_b32 s3, 0
	s_wait_alu 0xfffe
	s_xor_b32 s2, s2, s4
	s_wait_alu 0xfffe
	s_sub_co_i32 s11, s2, s4
	s_delay_alu instid0(SALU_CYCLE_1) | instskip(SKIP_3) | instid1(SALU_CYCLE_2)
	s_abs_i32 s10, s11
	s_cmp_eq_u64 s[42:43], 0
	s_cvt_f32_u32 s2, s10
	s_wait_alu 0xfffe
	v_rcp_iflag_f32_e32 v1, s2
	s_delay_alu instid0(TRANS32_DEP_1)
	v_readfirstlane_b32 s6, v1
	s_cbranch_scc1 .LBB0_2
; %bb.1:
	s_abs_i32 s2, s8
	s_wait_alu 0xfffe
	s_cvt_f32_u32 s4, s2
	s_delay_alu instid0(SALU_CYCLE_3) | instskip(NEXT) | instid1(TRANS32_DEP_1)
	v_rcp_iflag_f32_e32 v1, s4
	v_readfirstlane_b32 s4, v1
	s_mul_f32 s4, s4, 0x4f7ffffe
	s_wait_alu 0xfffe
	s_delay_alu instid0(SALU_CYCLE_2) | instskip(SKIP_2) | instid1(SALU_CYCLE_1)
	s_cvt_u32_f32 s7, s4
	s_sub_co_i32 s4, 0, s2
	s_wait_alu 0xfffe
	s_mul_i32 s4, s4, s7
	s_wait_alu 0xfffe
	s_mul_hi_u32 s8, s7, s4
	s_load_b64 s[4:5], s[0:1], 0xc8
	s_add_co_i32 s7, s7, s8
	s_delay_alu instid0(SALU_CYCLE_1) | instskip(NEXT) | instid1(SALU_CYCLE_1)
	s_mul_hi_u32 s7, s28, s7
	s_mul_i32 s7, s7, s2
	s_delay_alu instid0(SALU_CYCLE_1) | instskip(NEXT) | instid1(SALU_CYCLE_1)
	s_sub_co_i32 s7, s28, s7
	s_sub_co_i32 s8, s7, s2
	s_cmp_ge_u32 s7, s2
	s_cselect_b32 s7, s8, s7
	s_delay_alu instid0(SALU_CYCLE_1) | instskip(SKIP_2) | instid1(SALU_CYCLE_1)
	s_sub_co_i32 s8, s7, s2
	s_cmp_ge_u32 s7, s2
	s_cselect_b32 s12, s8, s7
	s_ashr_i32 s13, s12, 31
	s_wait_kmcnt 0x0
	s_mul_u64 s[4:5], s[4:5], s[12:13]
	s_wait_alu 0xfffe
	s_add_nc_u64 s[52:53], s[42:43], s[4:5]
.LBB0_2:
	v_lshrrev_b32_e32 v1, 10, v0
	s_clause 0x1
	s_load_b96 s[12:14], s[0:1], 0x70
	s_load_b32 s7, s[0:1], 0x40
	v_bfe_u32 v2, v0, 10, 10
	v_and_b32_e32 v13, 0x3ff, v0
	v_bfe_u32 v1, v1, 2, 8
	s_delay_alu instid0(VALU_DEP_3) | instskip(NEXT) | instid1(VALU_DEP_3)
	v_mul_u32_u24_e32 v11, 0x600, v2
	v_lshlrev_b32_e32 v16, 3, v13
	s_delay_alu instid0(VALU_DEP_3) | instskip(SKIP_1) | instid1(VALU_DEP_3)
	v_lshl_add_u32 v12, ttmp9, 1, v1
	v_lshlrev_b32_e32 v4, 2, v2
	v_mad_u32_u24 v14, 0x600, v2, v16
	s_delay_alu instid0(VALU_DEP_3) | instskip(NEXT) | instid1(VALU_DEP_3)
	v_mul_hi_u32 v1, s24, v12
	v_and_b32_e32 v26, 12, v4
	s_wait_kmcnt 0x0
	s_mul_i32 s16, s31, s13
	s_ashr_i32 s19, s13, 31
	s_delay_alu instid0(VALU_DEP_2)
	v_add_nc_u32_e32 v1, v12, v1
	s_mov_b32 s18, s13
	s_ashr_i32 s13, s12, 31
	s_ashr_i32 s17, s16, 31
	s_lshr_b64 s[4:5], s[12:13], 2
	v_lshrrev_b32_e32 v1, s25, v1
	s_lshr_b32 s2, s13, 2
	s_mul_i32 s12, s28, s14
	s_delay_alu instid0(SALU_CYCLE_1) | instskip(NEXT) | instid1(VALU_DEP_1)
	s_ashr_i32 s13, s12, 31
	v_mul_lo_u32 v1, v1, s26
	s_add_nc_u64 s[12:13], s[36:37], s[12:13]
	s_delay_alu instid0(SALU_CYCLE_1) | instskip(NEXT) | instid1(VALU_DEP_1)
	s_add_nc_u64 s[12:13], s[12:13], s[16:17]
	v_sub_nc_u32_e32 v3, v12, v1
	s_wait_alu 0xfffe
	s_delay_alu instid0(VALU_DEP_1) | instskip(SKIP_2) | instid1(VALU_DEP_1)
	v_mad_co_u64_u32 v[5:6], null, s4, v3, 0
	s_lshr_b64 s[4:5], s[18:19], 2
	v_mov_b32_e32 v1, v6
	v_mad_co_u64_u32 v[6:7], null, s2, v3, v[1:2]
	s_wait_alu 0xfffe
	v_mad_co_u64_u32 v[7:8], null, s4, v26, 0
	s_delay_alu instid0(VALU_DEP_2) | instskip(SKIP_1) | instid1(VALU_DEP_3)
	v_lshlrev_b64_e32 v[0:1], 2, v[5:6]
	v_lshlrev_b32_e32 v5, 4, v13
	v_mad_i32_i24 v8, s19, v26, v8
	s_delay_alu instid0(VALU_DEP_3) | instskip(NEXT) | instid1(VALU_DEP_1)
	v_add_co_u32 v6, vcc_lo, s12, v0
	v_add_co_ci_u32_e64 v9, null, s13, v1, vcc_lo
	s_delay_alu instid0(VALU_DEP_3) | instskip(NEXT) | instid1(VALU_DEP_3)
	v_lshlrev_b64_e32 v[0:1], 2, v[7:8]
	v_add_co_u32 v5, vcc_lo, v6, v5
	s_wait_alu 0xfffd
	s_delay_alu instid0(VALU_DEP_3) | instskip(NEXT) | instid1(VALU_DEP_2)
	v_add_co_ci_u32_e64 v6, null, 0, v9, vcc_lo
	v_add_co_u32 v0, vcc_lo, v5, v0
	s_wait_alu 0xfffd
	s_delay_alu instid0(VALU_DEP_2)
	v_add_co_ci_u32_e64 v1, null, v6, v1, vcc_lo
	v_cmp_gt_u32_e32 vcc_lo, 16, v13
	global_load_b128 v[7:10], v[0:1], off
	s_wait_loadcnt 0x0
	v_fma_mixlo_f16 v8, s7, v8, 0
	v_fma_mixlo_f16 v7, s7, v7, 0
	;; [unrolled: 1-line block ×4, first 2 shown]
	s_delay_alu instid0(VALU_DEP_4) | instskip(NEXT) | instid1(VALU_DEP_4)
	v_lshlrev_b32_e32 v8, 16, v8
	v_and_b32_e32 v7, 0xffff, v7
	s_delay_alu instid0(VALU_DEP_4) | instskip(NEXT) | instid1(VALU_DEP_4)
	v_and_b32_e32 v9, 0xffff, v9
	v_lshlrev_b32_e32 v10, 16, v10
	s_delay_alu instid0(VALU_DEP_3) | instskip(NEXT) | instid1(VALU_DEP_2)
	v_or_b32_e32 v7, v8, v7
	v_or3_b32 v8, v10, v9, 0
	s_delay_alu instid0(VALU_DEP_2)
	v_or3_b32 v7, 0, 0, v7
	ds_store_b64 v14, v[7:8]
	s_and_saveexec_b32 s2, vcc_lo
	s_cbranch_execz .LBB0_4
; %bb.3:
	global_load_b128 v[7:10], v[0:1], off offset:512
	s_wait_loadcnt 0x0
	v_fma_mixlo_f16 v0, s7, v8, 0
	v_fma_mixlo_f16 v1, s7, v7, 0
	;; [unrolled: 1-line block ×4, first 2 shown]
	s_delay_alu instid0(VALU_DEP_4) | instskip(NEXT) | instid1(VALU_DEP_4)
	v_lshlrev_b32_e32 v0, 16, v0
	v_and_b32_e32 v1, 0xffff, v1
	s_delay_alu instid0(VALU_DEP_4) | instskip(NEXT) | instid1(VALU_DEP_4)
	v_and_b32_e32 v7, 0xffff, v7
	v_lshlrev_b32_e32 v8, 16, v8
	s_delay_alu instid0(VALU_DEP_3) | instskip(NEXT) | instid1(VALU_DEP_2)
	v_or_b32_e32 v0, v0, v1
	v_or3_b32 v1, v8, v7, 0
	v_add_nc_u32_e32 v7, v16, v11
	s_delay_alu instid0(VALU_DEP_3)
	v_or3_b32 v0, 0, 0, v0
	ds_store_b64 v7, v[0:1] offset:256
.LBB0_4:
	s_wait_alu 0xfffe
	s_or_b32 exec_lo, exec_lo, s2
	v_or_b32_e32 v14, 1, v4
	s_delay_alu instid0(VALU_DEP_1) | instskip(SKIP_2) | instid1(VALU_DEP_3)
	v_and_b32_e32 v7, 13, v14
	v_mul_u32_u24_e32 v15, 0x180, v14
	v_mad_u32_u24 v14, 0x180, v14, v16
	v_mad_co_u64_u32 v[0:1], null, s4, v7, 0
	s_delay_alu instid0(VALU_DEP_1) | instskip(NEXT) | instid1(VALU_DEP_1)
	v_mad_co_u64_u32 v[7:8], null, s5, v7, v[1:2]
	v_mov_b32_e32 v1, v7
	s_delay_alu instid0(VALU_DEP_1) | instskip(NEXT) | instid1(VALU_DEP_1)
	v_lshlrev_b64_e32 v[0:1], 2, v[0:1]
	v_add_co_u32 v0, s2, v5, v0
	s_wait_alu 0xf1ff
	s_delay_alu instid0(VALU_DEP_2)
	v_add_co_ci_u32_e64 v1, null, v6, v1, s2
	global_load_b128 v[7:10], v[0:1], off
	s_wait_loadcnt 0x0
	v_fma_mixlo_f16 v8, s7, v8, 0
	v_fma_mixlo_f16 v7, s7, v7, 0
	;; [unrolled: 1-line block ×4, first 2 shown]
	s_delay_alu instid0(VALU_DEP_4) | instskip(NEXT) | instid1(VALU_DEP_4)
	v_lshlrev_b32_e32 v8, 16, v8
	v_and_b32_e32 v7, 0xffff, v7
	s_delay_alu instid0(VALU_DEP_4) | instskip(NEXT) | instid1(VALU_DEP_4)
	v_and_b32_e32 v9, 0xffff, v9
	v_lshlrev_b32_e32 v10, 16, v10
	s_delay_alu instid0(VALU_DEP_3) | instskip(NEXT) | instid1(VALU_DEP_2)
	v_or_b32_e32 v7, v8, v7
	v_or3_b32 v9, v10, v9, 0
	s_delay_alu instid0(VALU_DEP_2)
	v_or3_b32 v8, 0, 0, v7
	v_add_nc_u32_e32 v7, v16, v15
	ds_store_b64 v14, v[8:9]
	s_and_saveexec_b32 s2, vcc_lo
	s_cbranch_execz .LBB0_6
; %bb.5:
	global_load_b128 v[17:20], v[0:1], off offset:512
	s_wait_loadcnt 0x0
	v_fma_mixlo_f16 v0, s7, v18, 0
	v_fma_mixlo_f16 v1, s7, v17, 0
	;; [unrolled: 1-line block ×4, first 2 shown]
	s_delay_alu instid0(VALU_DEP_4) | instskip(NEXT) | instid1(VALU_DEP_4)
	v_lshlrev_b32_e32 v0, 16, v0
	v_and_b32_e32 v1, 0xffff, v1
	s_delay_alu instid0(VALU_DEP_4) | instskip(NEXT) | instid1(VALU_DEP_4)
	v_and_b32_e32 v8, 0xffff, v8
	v_lshlrev_b32_e32 v9, 16, v9
	s_delay_alu instid0(VALU_DEP_3) | instskip(NEXT) | instid1(VALU_DEP_2)
	v_or_b32_e32 v0, v0, v1
	v_or3_b32 v1, v9, v8, 0
	s_delay_alu instid0(VALU_DEP_2)
	v_or3_b32 v0, 0, 0, v0
	ds_store_b64 v7, v[0:1] offset:256
.LBB0_6:
	s_wait_alu 0xfffe
	s_or_b32 exec_lo, exec_lo, s2
	v_or_b32_e32 v0, 2, v4
	s_delay_alu instid0(VALU_DEP_1) | instskip(NEXT) | instid1(VALU_DEP_1)
	v_and_b32_e32 v8, 14, v0
	v_mad_co_u64_u32 v[0:1], null, s4, v8, 0
	s_delay_alu instid0(VALU_DEP_1) | instskip(NEXT) | instid1(VALU_DEP_1)
	v_mad_co_u64_u32 v[8:9], null, s5, v8, v[1:2]
	v_mov_b32_e32 v1, v8
	s_delay_alu instid0(VALU_DEP_1) | instskip(NEXT) | instid1(VALU_DEP_1)
	v_lshlrev_b64_e32 v[0:1], 2, v[0:1]
	v_add_co_u32 v0, s2, v5, v0
	s_wait_alu 0xf1ff
	s_delay_alu instid0(VALU_DEP_2)
	v_add_co_ci_u32_e64 v1, null, v6, v1, s2
	global_load_b128 v[17:20], v[0:1], off
	s_wait_loadcnt 0x0
	v_fma_mixlo_f16 v8, s7, v18, 0
	v_fma_mixlo_f16 v9, s7, v17, 0
	;; [unrolled: 1-line block ×4, first 2 shown]
	s_delay_alu instid0(VALU_DEP_4) | instskip(NEXT) | instid1(VALU_DEP_4)
	v_lshlrev_b32_e32 v8, 16, v8
	v_and_b32_e32 v9, 0xffff, v9
	s_delay_alu instid0(VALU_DEP_4) | instskip(NEXT) | instid1(VALU_DEP_4)
	v_and_b32_e32 v10, 0xffff, v10
	v_lshlrev_b32_e32 v14, 16, v14
	s_delay_alu instid0(VALU_DEP_3) | instskip(NEXT) | instid1(VALU_DEP_2)
	v_or_b32_e32 v8, v8, v9
	v_or3_b32 v9, v14, v10, 0
	s_delay_alu instid0(VALU_DEP_2)
	v_or3_b32 v8, 0, 0, v8
	ds_store_b64 v7, v[8:9] offset:384
	s_and_saveexec_b32 s2, vcc_lo
	s_cbranch_execz .LBB0_8
; %bb.7:
	global_load_b128 v[17:20], v[0:1], off offset:512
	s_wait_loadcnt 0x0
	v_fma_mixlo_f16 v0, s7, v18, 0
	v_fma_mixlo_f16 v1, s7, v17, 0
	;; [unrolled: 1-line block ×4, first 2 shown]
	s_delay_alu instid0(VALU_DEP_4) | instskip(NEXT) | instid1(VALU_DEP_4)
	v_lshlrev_b32_e32 v0, 16, v0
	v_and_b32_e32 v1, 0xffff, v1
	s_delay_alu instid0(VALU_DEP_4) | instskip(NEXT) | instid1(VALU_DEP_4)
	v_and_b32_e32 v8, 0xffff, v8
	v_lshlrev_b32_e32 v9, 16, v9
	s_delay_alu instid0(VALU_DEP_3) | instskip(NEXT) | instid1(VALU_DEP_2)
	v_or_b32_e32 v0, v0, v1
	v_or3_b32 v1, v9, v8, 0
	s_delay_alu instid0(VALU_DEP_2)
	v_or3_b32 v0, 0, 0, v0
	ds_store_b64 v7, v[0:1] offset:640
.LBB0_8:
	s_wait_alu 0xfffe
	s_or_b32 exec_lo, exec_lo, s2
	v_or_b32_e32 v0, 3, v4
	s_delay_alu instid0(VALU_DEP_1) | instskip(NEXT) | instid1(VALU_DEP_1)
	v_and_b32_e32 v8, 15, v0
	v_mad_co_u64_u32 v[0:1], null, s4, v8, 0
	s_delay_alu instid0(VALU_DEP_1) | instskip(NEXT) | instid1(VALU_DEP_1)
	v_mad_co_u64_u32 v[8:9], null, s5, v8, v[1:2]
	v_mov_b32_e32 v1, v8
	s_delay_alu instid0(VALU_DEP_1) | instskip(NEXT) | instid1(VALU_DEP_1)
	v_lshlrev_b64_e32 v[0:1], 2, v[0:1]
	v_add_co_u32 v0, s2, v5, v0
	s_wait_alu 0xf1ff
	s_delay_alu instid0(VALU_DEP_2)
	v_add_co_ci_u32_e64 v1, null, v6, v1, s2
	global_load_b128 v[17:20], v[0:1], off
	s_wait_loadcnt 0x0
	v_fma_mixlo_f16 v5, s7, v18, 0
	v_fma_mixlo_f16 v6, s7, v17, 0
	;; [unrolled: 1-line block ×4, first 2 shown]
	s_delay_alu instid0(VALU_DEP_4) | instskip(NEXT) | instid1(VALU_DEP_4)
	v_lshlrev_b32_e32 v5, 16, v5
	v_and_b32_e32 v6, 0xffff, v6
	s_delay_alu instid0(VALU_DEP_4) | instskip(NEXT) | instid1(VALU_DEP_4)
	v_and_b32_e32 v8, 0xffff, v8
	v_lshlrev_b32_e32 v9, 16, v9
	s_delay_alu instid0(VALU_DEP_3) | instskip(NEXT) | instid1(VALU_DEP_2)
	v_or_b32_e32 v5, v5, v6
	v_or3_b32 v6, v9, v8, 0
	s_delay_alu instid0(VALU_DEP_2)
	v_or3_b32 v5, 0, 0, v5
	ds_store_b64 v7, v[5:6] offset:768
	s_and_saveexec_b32 s2, vcc_lo
	s_cbranch_execz .LBB0_10
; %bb.9:
	global_load_b128 v[17:20], v[0:1], off offset:512
	s_wait_loadcnt 0x0
	v_fma_mixlo_f16 v0, s7, v18, 0
	v_fma_mixlo_f16 v1, s7, v17, 0
	;; [unrolled: 1-line block ×4, first 2 shown]
	s_delay_alu instid0(VALU_DEP_4) | instskip(NEXT) | instid1(VALU_DEP_4)
	v_lshlrev_b32_e32 v0, 16, v0
	v_and_b32_e32 v1, 0xffff, v1
	s_delay_alu instid0(VALU_DEP_4) | instskip(NEXT) | instid1(VALU_DEP_4)
	v_and_b32_e32 v5, 0xffff, v5
	v_lshlrev_b32_e32 v6, 16, v6
	s_delay_alu instid0(VALU_DEP_3) | instskip(NEXT) | instid1(VALU_DEP_2)
	v_or_b32_e32 v0, v0, v1
	v_or3_b32 v1, v6, v5, 0
	s_delay_alu instid0(VALU_DEP_2)
	v_or3_b32 v0, 0, 0, v0
	ds_store_b64 v7, v[0:1] offset:1024
.LBB0_10:
	s_wait_alu 0xfffe
	s_or_b32 exec_lo, exec_lo, s2
	s_cmp_eq_u64 s[46:47], 0
	s_wait_dscnt 0x0
	s_barrier_signal -1
	s_barrier_wait -1
	global_inv scope:SCOPE_SE
	s_cbranch_scc1 .LBB0_12
; %bb.11:
	s_load_b32 s2, s[0:1], 0xd0
	s_mov_b32 s5, 0
	s_wait_kmcnt 0x0
	s_mul_i32 s2, s2, s28
	s_wait_alu 0xfffe
	s_add_co_i32 s4, s2, ttmp9
	s_wait_alu 0xfffe
	s_lshl_b64 s[4:5], s[4:5], 2
	s_wait_alu 0xfffe
	s_add_nc_u64 s[4:5], s[46:47], s[4:5]
	s_load_b32 s34, s[4:5], 0x0
.LBB0_12:
	s_and_b32 s30, ttmp7, 0xffff
	v_mbcnt_lo_u32_b32 v28, -1, 0
	s_lshl_b32 s36, s30, 6
	s_wait_kmcnt 0x0
	s_cmp_lt_i32 s36, s34
	s_cbranch_scc1 .LBB0_15
; %bb.13:
	v_mbcnt_lo_u32_b32 v6, -1, 0
	v_mov_b32_e32 v5, 32
	s_delay_alu instid0(VALU_DEP_2)
	v_xor_b32_e32 v33, 16, v6
	v_xor_b32_e32 v32, 8, v6
	;; [unrolled: 1-line block ×5, first 2 shown]
	v_lshlrev_b32_e32 v27, 2, v13
	s_mov_b32 s29, 0
	s_cbranch_execz .LBB0_16
; %bb.14:
	v_dual_mov_b32 v53, 0 :: v_dual_mov_b32 v2, 0xfeffffff
	v_dual_mov_b32 v21, 0 :: v_dual_mov_b32 v0, 0xfeffffff
	;; [unrolled: 1-line block ×8, first 2 shown]
	s_branch .LBB0_19
.LBB0_15:
                                        ; implicit-def: $vgpr6
                                        ; implicit-def: $vgpr5
                                        ; implicit-def: $vgpr33
                                        ; implicit-def: $vgpr32
                                        ; implicit-def: $vgpr31
                                        ; implicit-def: $vgpr30
                                        ; implicit-def: $vgpr29
	v_lshlrev_b32_e32 v27, 2, v13
	s_mov_b32 s29, 0
.LBB0_16:
	s_mul_f32 s2, s6, 0x4f7ffffe
	s_clause 0x1
	s_load_b128 s[4:7], s[0:1], 0x98
	s_load_b64 s[12:13], s[0:1], 0x8c
	s_sub_co_i32 s14, 0, s10
	v_lshrrev_b32_e32 v0, 3, v13
	s_cvt_u32_f32 s8, s2
	v_dual_mov_b32 v47, 0 :: v_dual_and_b32 v10, 28, v27
	s_abs_i32 s2, s31
	s_delay_alu instid0(SALU_CYCLE_1)
	s_mul_i32 s14, s14, s8
	v_dual_mov_b32 v49, 0 :: v_dual_add_nc_u32 v0, v0, v4
	s_mul_hi_u32 s14, s8, s14
	v_lshrrev_b32_e32 v4, 4, v13
	s_mov_b32 s15, s3
	s_add_co_i32 s14, s8, s14
	v_lshlrev_b32_e32 v1, 2, v10
	s_wait_alu 0xfffe
	s_mul_u64 s[14:15], s[2:3], s[14:15]
	v_lshl_add_u32 v4, v2, 1, v4
	s_mul_i32 s3, s15, s10
	s_ashr_i32 s18, s31, 31
	s_ashr_i32 s11, s11, 31
	s_wait_alu 0xfffe
	s_sub_co_i32 s2, s2, s3
	s_load_b64 s[16:17], s[0:1], 0xa8
	s_wait_kmcnt 0x0
	s_ashr_i32 s42, s6, 2
	s_ashr_i32 s46, s12, 2
	v_dual_mov_b32 v50, 0 :: v_dual_and_b32 v17, 60, v27
	s_ashr_i32 s14, s9, 1
	s_xor_b32 s8, s18, s11
	s_add_co_i32 s9, s15, 1
	s_sub_co_i32 s3, s2, s10
	s_cmp_ge_u32 s2, s10
	v_mul_lo_u32 v6, s46, v0
	v_mad_u32_u24 v0, 0x90, v0, v1
	v_mul_lo_u32 v1, s42, v4
	s_cselect_b32 s6, s9, s15
	s_wait_alu 0xfffe
	s_cselect_b32 s2, s3, s2
	v_dual_mov_b32 v48, 0 :: v_dual_lshlrev_b32 v5, 2, v17
	s_add_co_i32 s3, s6, 1
	s_wait_alu 0xfffe
	s_cmp_ge_u32 s2, s10
	v_dual_mov_b32 v51, 0 :: v_dual_add_nc_u32 v34, 0x3000, v0
	s_cselect_b32 s6, s3, s6
	v_lshl_add_u32 v8, s46, 5, v6
	v_dual_mov_b32 v52, 0 :: v_dual_add_nc_u32 v35, 0x4200, v0
	v_lshl_or_b32 v0, v4, 8, v5
	v_mad_co_u64_u32 v[4:5], null, v3, s14, v[13:14]
	v_lshl_add_u32 v14, s42, 4, v1
	s_wait_alu 0xfffe
	s_xor_b32 s6, s6, s8
	s_mul_u64 s[2:3], s[4:5], s[28:29]
	s_wait_alu 0xfffe
	s_sub_co_i32 s6, s6, s8
	v_ashrrev_i32_e32 v7, 31, v6
	s_wait_alu 0xfffe
	s_mul_i32 s8, s6, s13
	v_ashrrev_i32_e32 v9, 31, v8
	v_lshl_add_u32 v37, v2, 9, 0x5400
	v_ashrrev_i32_e32 v2, 31, v1
	v_ashrrev_i32_e32 v15, 31, v14
	s_add_nc_u64 s[2:3], s[38:39], s[2:3]
	s_ashr_i32 s9, s8, 31
	s_mul_u64 s[4:5], s[16:17], s[28:29]
	s_wait_alu 0xfffe
	s_add_nc_u64 s[38:39], s[2:3], s[8:9]
	s_movk_i32 s2, 0x3000
	s_mul_i32 s6, s6, s7
	v_lshlrev_b64_e32 v[5:6], 2, v[6:7]
	v_lshlrev_b32_e32 v40, 2, v10
	v_lshlrev_b64_e32 v[7:8], 2, v[8:9]
	v_lshlrev_b64_e32 v[9:10], 2, v[1:2]
	v_lshlrev_b64_e32 v[14:15], 2, v[14:15]
	s_wait_alu 0xfffe
	v_mad_u32_u24 v36, 0x90, v13, s2
	v_dual_mov_b32 v53, 0 :: v_dual_add_nc_u32 v38, 0x3000, v0
	v_dual_mov_b32 v54, 0 :: v_dual_add_nc_u32 v39, 0x4000, v0
	v_mov_b32_e32 v0, 0xfeffffff
	v_xor_b32_e32 v33, 16, v28
	v_xor_b32_e32 v32, 8, v28
	;; [unrolled: 1-line block ×5, first 2 shown]
	v_dual_mov_b32 v2, 0xfeffffff :: v_dual_add_nc_u32 v41, v37, v16
	v_dual_mov_b32 v3, 0xfeffffff :: v_dual_lshlrev_b32 v42, 2, v17
	v_dual_mov_b32 v22, 0 :: v_dual_add_nc_u32 v43, 0x3000, v16
	v_dual_mov_b32 v23, 0 :: v_dual_add_nc_u32 v44, 0x3800, v16
	;; [unrolled: 1-line block ×4, first 2 shown]
	v_mov_b32_e32 v1, 0xfeffffff
	s_add_nc_u64 s[4:5], s[40:41], s[4:5]
	s_ashr_i32 s7, s6, 31
	s_ashr_i32 s47, s46, 31
	s_wait_alu 0xfffe
	s_add_nc_u64 s[40:41], s[4:5], s[6:7]
	s_ashr_i32 s43, s42, 31
	s_add_nc_u64 s[54:55], s[0:1], 0xd0
.LBB0_17:                               ; =>This Inner Loop Header: Depth=1
	v_cmp_gt_i32_e32 vcc_lo, 32, v33
	v_cmp_gt_i32_e64 s3, 32, v31
	v_cmp_gt_i32_e64 s2, 32, v32
	s_ashr_i32 s37, s36, 31
	v_cmp_gt_i32_e64 s5, 32, v29
	s_or_b32 s6, s36, 32
	v_dual_mov_b32 v57, v1 :: v_dual_mov_b32 v58, v0
	v_dual_mov_b32 v69, v22 :: v_dual_add_nc_u32 v0, s36, v4
	s_wait_alu 0xfffe
	s_mul_u64 s[8:9], s[36:37], s[46:47]
	v_dual_mov_b32 v55, v3 :: v_dual_mov_b32 v56, v2
	v_cmp_gt_i32_e64 s4, 32, v30
	s_ashr_i32 s7, s6, 31
	v_cndmask_b32_e64 v16, v28, v31, s3
	s_wait_alu 0xfffd
	v_cndmask_b32_e32 v2, v28, v33, vcc_lo
	v_cndmask_b32_e64 v3, v28, v32, s2
	s_wait_alu 0xfffe
	s_lshl_b64 s[2:3], s[8:9], 2
	s_mul_u64 s[6:7], s[6:7], s[42:43]
	v_cndmask_b32_e64 v18, v28, v29, s5
	s_wait_alu 0xfffe
	s_add_nc_u64 s[8:9], s[38:39], s[2:3]
	s_mul_u64 s[10:11], s[36:37], s[42:43]
	v_ashrrev_i32_e32 v1, 31, v0
	s_lshl_b64 s[6:7], s[6:7], 2
	v_cndmask_b32_e64 v17, v28, v30, s4
	v_dual_mov_b32 v70, v20 :: v_dual_lshlrev_b32 v73, 2, v16
	v_lshlrev_b32_e32 v75, 2, v2
	s_wait_alu 0xfffe
	v_add_co_u32 v2, vcc_lo, s8, v5
	s_lshl_b64 s[4:5], s[10:11], 2
	v_lshlrev_b32_e32 v74, 2, v3
	v_add_co_u32 v3, s2, s8, v7
	s_add_nc_u64 s[6:7], s[40:41], s[6:7]
	v_lshlrev_b32_e32 v71, 2, v18
	s_wait_alu 0xfffd
	v_add_co_ci_u32_e64 v18, null, s9, v6, vcc_lo
	s_wait_alu 0xfffe
	s_add_nc_u64 s[4:5], s[40:41], s[4:5]
	v_add_co_ci_u32_e64 v19, null, s9, v8, s2
	v_add_co_u32 v78, vcc_lo, s6, v9
	v_lshlrev_b64_e32 v[0:1], 1, v[0:1]
	v_add_co_u32 v79, s2, s6, v14
	v_lshlrev_b32_e32 v72, 2, v17
	s_wait_alu 0xfffe
	v_add_co_u32 v16, s3, s4, v9
	v_add_co_u32 v17, s4, s4, v14
	s_wait_alu 0xfffd
	v_add_co_ci_u32_e64 v80, null, s7, v10, vcc_lo
	v_add_co_u32 v22, vcc_lo, v2, v40
	s_wait_alu 0xf1ff
	v_add_co_ci_u32_e64 v81, null, s7, v15, s2
	v_add_co_u32 v24, s2, v3, v40
	v_dual_mov_b32 v68, v23 :: v_dual_mov_b32 v67, v21
	v_add_co_ci_u32_e64 v76, null, s5, v10, s3
	v_add_co_ci_u32_e64 v77, null, s5, v15, s4
	s_wait_alu 0xfffd
	v_add_co_ci_u32_e64 v23, null, 0, v18, vcc_lo
	s_wait_alu 0xf1ff
	v_add_co_ci_u32_e64 v25, null, 0, v19, s2
	v_add_co_u32 v20, s3, s52, v0
	v_add_co_u32 v0, s4, v16, v42
	;; [unrolled: 1-line block ×3, first 2 shown]
	v_add_co_u32 v18, vcc_lo, v78, v42
	v_add_co_u32 v16, s2, v79, v42
	s_wait_alu 0xf1ff
	v_add_co_ci_u32_e64 v21, null, s53, v1, s3
	v_add_co_ci_u32_e64 v1, null, 0, v76, s4
	;; [unrolled: 1-line block ×3, first 2 shown]
	s_wait_alu 0xfffd
	v_add_co_ci_u32_e64 v19, null, 0, v80, vcc_lo
	v_add_co_ci_u32_e64 v17, null, 0, v81, s2
	s_clause 0x1
	global_load_b128 v[76:79], v[22:23], off
	global_load_b128 v[80:83], v[24:25], off
	v_dual_mov_b32 v59, 0 :: v_dual_mov_b32 v60, 0
	v_dual_mov_b32 v61, 0 :: v_dual_mov_b32 v62, 0
	;; [unrolled: 1-line block ×4, first 2 shown]
	s_wait_loadcnt 0x1
	ds_store_b128 v34, v[76:79]
	s_wait_loadcnt 0x0
	ds_store_b128 v35, v[80:83]
	s_wait_dscnt 0x0
	s_barrier_signal -1
	s_barrier_wait -1
	global_inv scope:SCOPE_SE
	ds_load_b128 v[76:79], v36
	ds_load_b128 v[80:83], v11
	ds_load_b128 v[84:87], v11 offset:384
	ds_load_b128 v[88:91], v11 offset:768
	;; [unrolled: 1-line block ×4, first 2 shown]
	s_wait_dscnt 0x4
	;;#ASMSTART
	v_dot2_f32_f16 v59, v76, v80, v59
	;;#ASMEND
	;;#ASMSTART
	v_dot2_f32_f16 v59, v77, v81, v59
	;;#ASMEND
	;;#ASMSTART
	v_dot2_f32_f16 v59, v78, v82, v59
	;;#ASMEND
	;;#ASMSTART
	v_dot2_f32_f16 v59, v79, v83, v59
	;;#ASMEND
	s_wait_dscnt 0x3
	;;#ASMSTART
	v_dot2_f32_f16 v60, v76, v84, v60
	;;#ASMEND
	;;#ASMSTART
	v_dot2_f32_f16 v60, v77, v85, v60
	;;#ASMEND
	;;#ASMSTART
	v_dot2_f32_f16 v60, v78, v86, v60
	;;#ASMEND
	;;#ASMSTART
	v_dot2_f32_f16 v60, v79, v87, v60
	;;#ASMEND
	;; [unrolled: 13-line block ×5, first 2 shown]
	;;#ASMSTART
	v_dot2_f32_f16 v64, v96, v84, v64
	;;#ASMEND
	;;#ASMSTART
	v_dot2_f32_f16 v64, v97, v85, v64
	;;#ASMEND
	;;#ASMSTART
	v_dot2_f32_f16 v64, v98, v86, v64
	;;#ASMEND
	;;#ASMSTART
	v_dot2_f32_f16 v64, v99, v87, v64
	;;#ASMEND
	;;#ASMSTART
	v_dot2_f32_f16 v65, v96, v88, v65
	;;#ASMEND
	;;#ASMSTART
	v_dot2_f32_f16 v65, v97, v89, v65
	;;#ASMEND
	;;#ASMSTART
	v_dot2_f32_f16 v65, v98, v90, v65
	;;#ASMEND
	;;#ASMSTART
	v_dot2_f32_f16 v65, v99, v91, v65
	;;#ASMEND
	;;#ASMSTART
	v_dot2_f32_f16 v66, v96, v92, v66
	;;#ASMEND
	;;#ASMSTART
	v_dot2_f32_f16 v66, v97, v93, v66
	;;#ASMEND
	;;#ASMSTART
	v_dot2_f32_f16 v66, v98, v94, v66
	;;#ASMEND
	;;#ASMSTART
	v_dot2_f32_f16 v66, v99, v95, v66
	;;#ASMEND
	ds_load_b128 v[76:79], v36 offset:16
	ds_load_b128 v[80:83], v11 offset:16
	;; [unrolled: 1-line block ×6, first 2 shown]
	s_wait_dscnt 0x4
	;;#ASMSTART
	v_dot2_f32_f16 v59, v76, v80, v59
	;;#ASMEND
	;;#ASMSTART
	v_dot2_f32_f16 v59, v77, v81, v59
	;;#ASMEND
	;;#ASMSTART
	v_dot2_f32_f16 v59, v78, v82, v59
	;;#ASMEND
	;;#ASMSTART
	v_dot2_f32_f16 v59, v79, v83, v59
	;;#ASMEND
	s_wait_dscnt 0x3
	;;#ASMSTART
	v_dot2_f32_f16 v60, v76, v84, v60
	;;#ASMEND
	;;#ASMSTART
	v_dot2_f32_f16 v60, v77, v85, v60
	;;#ASMEND
	;;#ASMSTART
	v_dot2_f32_f16 v60, v78, v86, v60
	;;#ASMEND
	;;#ASMSTART
	v_dot2_f32_f16 v60, v79, v87, v60
	;;#ASMEND
	;; [unrolled: 13-line block ×5, first 2 shown]
	;;#ASMSTART
	v_dot2_f32_f16 v64, v96, v84, v64
	;;#ASMEND
	;;#ASMSTART
	v_dot2_f32_f16 v64, v97, v85, v64
	;;#ASMEND
	;; [unrolled: 3-line block ×12, first 2 shown]
	ds_load_b128 v[76:79], v36 offset:32
	ds_load_b128 v[80:83], v11 offset:32
	;; [unrolled: 1-line block ×6, first 2 shown]
	s_wait_dscnt 0x4
	;;#ASMSTART
	v_dot2_f32_f16 v59, v76, v80, v59
	;;#ASMEND
	;;#ASMSTART
	v_dot2_f32_f16 v59, v77, v81, v59
	;;#ASMEND
	;;#ASMSTART
	v_dot2_f32_f16 v59, v78, v82, v59
	;;#ASMEND
	;;#ASMSTART
	v_dot2_f32_f16 v59, v79, v83, v59
	;;#ASMEND
	s_wait_dscnt 0x3
	;;#ASMSTART
	v_dot2_f32_f16 v60, v76, v84, v60
	;;#ASMEND
	;;#ASMSTART
	v_dot2_f32_f16 v60, v77, v85, v60
	;;#ASMEND
	;;#ASMSTART
	v_dot2_f32_f16 v60, v78, v86, v60
	;;#ASMEND
	;;#ASMSTART
	v_dot2_f32_f16 v60, v79, v87, v60
	;;#ASMEND
	;; [unrolled: 13-line block ×5, first 2 shown]
	;;#ASMSTART
	v_dot2_f32_f16 v64, v96, v84, v64
	;;#ASMEND
	;;#ASMSTART
	v_dot2_f32_f16 v64, v97, v85, v64
	;;#ASMEND
	;; [unrolled: 3-line block ×12, first 2 shown]
	ds_load_b128 v[76:79], v36 offset:48
	ds_load_b128 v[80:83], v11 offset:48
	;; [unrolled: 1-line block ×6, first 2 shown]
	s_wait_dscnt 0x4
	;;#ASMSTART
	v_dot2_f32_f16 v59, v76, v80, v59
	;;#ASMEND
	;;#ASMSTART
	v_dot2_f32_f16 v59, v77, v81, v59
	;;#ASMEND
	;;#ASMSTART
	v_dot2_f32_f16 v59, v78, v82, v59
	;;#ASMEND
	;;#ASMSTART
	v_dot2_f32_f16 v59, v79, v83, v59
	;;#ASMEND
	s_wait_dscnt 0x3
	;;#ASMSTART
	v_dot2_f32_f16 v60, v76, v84, v60
	;;#ASMEND
	;;#ASMSTART
	v_dot2_f32_f16 v60, v77, v85, v60
	;;#ASMEND
	;;#ASMSTART
	v_dot2_f32_f16 v60, v78, v86, v60
	;;#ASMEND
	;;#ASMSTART
	v_dot2_f32_f16 v60, v79, v87, v60
	;;#ASMEND
	;; [unrolled: 13-line block ×5, first 2 shown]
	;;#ASMSTART
	v_dot2_f32_f16 v64, v96, v84, v64
	;;#ASMEND
	;;#ASMSTART
	v_dot2_f32_f16 v64, v97, v85, v64
	;;#ASMEND
	;;#ASMSTART
	v_dot2_f32_f16 v64, v98, v86, v64
	;;#ASMEND
	;;#ASMSTART
	v_dot2_f32_f16 v64, v99, v87, v64
	;;#ASMEND
	;;#ASMSTART
	v_dot2_f32_f16 v65, v96, v88, v65
	;;#ASMEND
	;;#ASMSTART
	v_dot2_f32_f16 v65, v97, v89, v65
	;;#ASMEND
	;;#ASMSTART
	v_dot2_f32_f16 v65, v98, v90, v65
	;;#ASMEND
	;;#ASMSTART
	v_dot2_f32_f16 v65, v99, v91, v65
	;;#ASMEND
	;;#ASMSTART
	v_dot2_f32_f16 v66, v96, v92, v66
	;;#ASMEND
	;;#ASMSTART
	v_dot2_f32_f16 v66, v97, v93, v66
	;;#ASMEND
	;;#ASMSTART
	v_dot2_f32_f16 v66, v98, v94, v66
	;;#ASMEND
	;;#ASMSTART
	v_dot2_f32_f16 v66, v99, v95, v66
	;;#ASMEND
	ds_load_b128 v[76:79], v36 offset:64
	ds_load_b128 v[80:83], v11 offset:64
	;; [unrolled: 1-line block ×6, first 2 shown]
	s_wait_dscnt 0x4
	;;#ASMSTART
	v_dot2_f32_f16 v59, v76, v80, v59
	;;#ASMEND
	;;#ASMSTART
	v_dot2_f32_f16 v59, v77, v81, v59
	;;#ASMEND
	;;#ASMSTART
	v_dot2_f32_f16 v59, v78, v82, v59
	;;#ASMEND
	;;#ASMSTART
	v_dot2_f32_f16 v59, v79, v83, v59
	;;#ASMEND
	s_wait_dscnt 0x3
	;;#ASMSTART
	v_dot2_f32_f16 v60, v76, v84, v60
	;;#ASMEND
	;;#ASMSTART
	v_dot2_f32_f16 v60, v77, v85, v60
	;;#ASMEND
	;;#ASMSTART
	v_dot2_f32_f16 v60, v78, v86, v60
	;;#ASMEND
	;;#ASMSTART
	v_dot2_f32_f16 v60, v79, v87, v60
	;;#ASMEND
	;; [unrolled: 13-line block ×5, first 2 shown]
	;;#ASMSTART
	v_dot2_f32_f16 v64, v96, v84, v64
	;;#ASMEND
	;;#ASMSTART
	v_dot2_f32_f16 v64, v97, v85, v64
	;;#ASMEND
	;; [unrolled: 3-line block ×12, first 2 shown]
	ds_load_b128 v[76:79], v36 offset:80
	ds_load_b128 v[80:83], v11 offset:80
	;; [unrolled: 1-line block ×6, first 2 shown]
	s_wait_dscnt 0x4
	;;#ASMSTART
	v_dot2_f32_f16 v59, v76, v80, v59
	;;#ASMEND
	;;#ASMSTART
	v_dot2_f32_f16 v59, v77, v81, v59
	;;#ASMEND
	;;#ASMSTART
	v_dot2_f32_f16 v59, v78, v82, v59
	;;#ASMEND
	;;#ASMSTART
	v_dot2_f32_f16 v59, v79, v83, v59
	;;#ASMEND
	s_wait_dscnt 0x3
	;;#ASMSTART
	v_dot2_f32_f16 v60, v76, v84, v60
	;;#ASMEND
	;;#ASMSTART
	v_dot2_f32_f16 v60, v77, v85, v60
	;;#ASMEND
	;;#ASMSTART
	v_dot2_f32_f16 v60, v78, v86, v60
	;;#ASMEND
	;;#ASMSTART
	v_dot2_f32_f16 v60, v79, v87, v60
	;;#ASMEND
	;; [unrolled: 13-line block ×5, first 2 shown]
	;;#ASMSTART
	v_dot2_f32_f16 v64, v96, v84, v64
	;;#ASMEND
	;;#ASMSTART
	v_dot2_f32_f16 v64, v97, v85, v64
	;;#ASMEND
	;; [unrolled: 3-line block ×12, first 2 shown]
	ds_load_b128 v[76:79], v36 offset:96
	ds_load_b128 v[80:83], v11 offset:96
	;; [unrolled: 1-line block ×6, first 2 shown]
	s_wait_dscnt 0x4
	;;#ASMSTART
	v_dot2_f32_f16 v59, v76, v80, v59
	;;#ASMEND
	;;#ASMSTART
	v_dot2_f32_f16 v59, v77, v81, v59
	;;#ASMEND
	;;#ASMSTART
	v_dot2_f32_f16 v59, v78, v82, v59
	;;#ASMEND
	;;#ASMSTART
	v_dot2_f32_f16 v59, v79, v83, v59
	;;#ASMEND
	s_wait_dscnt 0x3
	;;#ASMSTART
	v_dot2_f32_f16 v60, v76, v84, v60
	;;#ASMEND
	;;#ASMSTART
	v_dot2_f32_f16 v60, v77, v85, v60
	;;#ASMEND
	;;#ASMSTART
	v_dot2_f32_f16 v60, v78, v86, v60
	;;#ASMEND
	;;#ASMSTART
	v_dot2_f32_f16 v60, v79, v87, v60
	;;#ASMEND
	;; [unrolled: 13-line block ×5, first 2 shown]
	;;#ASMSTART
	v_dot2_f32_f16 v64, v96, v84, v64
	;;#ASMEND
	;;#ASMSTART
	v_dot2_f32_f16 v64, v97, v85, v64
	;;#ASMEND
	;; [unrolled: 3-line block ×12, first 2 shown]
	ds_load_b128 v[76:79], v36 offset:112
	ds_load_b128 v[80:83], v11 offset:112
	;; [unrolled: 1-line block ×6, first 2 shown]
	s_wait_dscnt 0x4
	;;#ASMSTART
	v_dot2_f32_f16 v59, v76, v80, v59
	;;#ASMEND
	;;#ASMSTART
	v_dot2_f32_f16 v59, v77, v81, v59
	;;#ASMEND
	;;#ASMSTART
	v_dot2_f32_f16 v59, v78, v82, v59
	;;#ASMEND
	;;#ASMSTART
	v_dot2_f32_f16 v59, v79, v83, v59
	;;#ASMEND
	s_wait_dscnt 0x3
	;;#ASMSTART
	v_dot2_f32_f16 v60, v76, v84, v60
	;;#ASMEND
	;;#ASMSTART
	v_dot2_f32_f16 v60, v77, v85, v60
	;;#ASMEND
	;;#ASMSTART
	v_dot2_f32_f16 v60, v78, v86, v60
	;;#ASMEND
	;;#ASMSTART
	v_dot2_f32_f16 v60, v79, v87, v60
	;;#ASMEND
	s_wait_dscnt 0x2
	;;#ASMSTART
	v_dot2_f32_f16 v61, v76, v88, v61
	;;#ASMEND
	;;#ASMSTART
	v_dot2_f32_f16 v61, v77, v89, v61
	;;#ASMEND
	;;#ASMSTART
	v_dot2_f32_f16 v61, v78, v90, v61
	;;#ASMEND
	;;#ASMSTART
	v_dot2_f32_f16 v61, v79, v91, v61
	;;#ASMEND
	s_wait_dscnt 0x1
	;;#ASMSTART
	v_dot2_f32_f16 v62, v76, v92, v62
	;;#ASMEND
	;;#ASMSTART
	v_dot2_f32_f16 v62, v77, v93, v62
	;;#ASMEND
	;;#ASMSTART
	v_dot2_f32_f16 v62, v78, v94, v62
	;;#ASMEND
	;;#ASMSTART
	v_dot2_f32_f16 v62, v79, v95, v62
	;;#ASMEND
	s_wait_dscnt 0x0
	;;#ASMSTART
	v_dot2_f32_f16 v63, v96, v80, v63
	;;#ASMEND
	;;#ASMSTART
	v_dot2_f32_f16 v63, v97, v81, v63
	;;#ASMEND
	;;#ASMSTART
	v_dot2_f32_f16 v63, v98, v82, v63
	;;#ASMEND
	;;#ASMSTART
	v_dot2_f32_f16 v63, v99, v83, v63
	;;#ASMEND
	;;#ASMSTART
	v_dot2_f32_f16 v64, v96, v84, v64
	;;#ASMEND
	;;#ASMSTART
	v_dot2_f32_f16 v64, v97, v85, v64
	;;#ASMEND
	;; [unrolled: 3-line block ×12, first 2 shown]
	s_wait_loadcnt 0x0
	s_barrier_signal -1
	s_barrier_wait -1
	global_inv scope:SCOPE_SE
	s_clause 0x1
	global_load_b128 v[76:79], v[22:23], off offset:128
	global_load_b128 v[80:83], v[24:25], off offset:128
	s_wait_loadcnt 0x1
	ds_store_b128 v34, v[76:79]
	s_wait_loadcnt 0x0
	ds_store_b128 v35, v[80:83]
	s_wait_dscnt 0x0
	s_barrier_signal -1
	s_barrier_wait -1
	global_inv scope:SCOPE_SE
	ds_load_b128 v[76:79], v36
	ds_load_b128 v[80:83], v11 offset:128
	ds_load_b128 v[84:87], v11 offset:512
	;; [unrolled: 1-line block ×5, first 2 shown]
	s_wait_dscnt 0x4
	;;#ASMSTART
	v_dot2_f32_f16 v59, v76, v80, v59
	;;#ASMEND
	;;#ASMSTART
	v_dot2_f32_f16 v59, v77, v81, v59
	;;#ASMEND
	;;#ASMSTART
	v_dot2_f32_f16 v59, v78, v82, v59
	;;#ASMEND
	;;#ASMSTART
	v_dot2_f32_f16 v59, v79, v83, v59
	;;#ASMEND
	s_wait_dscnt 0x3
	;;#ASMSTART
	v_dot2_f32_f16 v60, v76, v84, v60
	;;#ASMEND
	;;#ASMSTART
	v_dot2_f32_f16 v60, v77, v85, v60
	;;#ASMEND
	;;#ASMSTART
	v_dot2_f32_f16 v60, v78, v86, v60
	;;#ASMEND
	;;#ASMSTART
	v_dot2_f32_f16 v60, v79, v87, v60
	;;#ASMEND
	;; [unrolled: 13-line block ×5, first 2 shown]
	;;#ASMSTART
	v_dot2_f32_f16 v64, v96, v84, v64
	;;#ASMEND
	;;#ASMSTART
	v_dot2_f32_f16 v64, v97, v85, v64
	;;#ASMEND
	;; [unrolled: 3-line block ×12, first 2 shown]
	ds_load_b128 v[76:79], v36 offset:16
	ds_load_b128 v[80:83], v11 offset:144
	;; [unrolled: 1-line block ×6, first 2 shown]
	s_wait_dscnt 0x4
	;;#ASMSTART
	v_dot2_f32_f16 v59, v76, v80, v59
	;;#ASMEND
	;;#ASMSTART
	v_dot2_f32_f16 v59, v77, v81, v59
	;;#ASMEND
	;;#ASMSTART
	v_dot2_f32_f16 v59, v78, v82, v59
	;;#ASMEND
	;;#ASMSTART
	v_dot2_f32_f16 v59, v79, v83, v59
	;;#ASMEND
	s_wait_dscnt 0x3
	;;#ASMSTART
	v_dot2_f32_f16 v60, v76, v84, v60
	;;#ASMEND
	;;#ASMSTART
	v_dot2_f32_f16 v60, v77, v85, v60
	;;#ASMEND
	;;#ASMSTART
	v_dot2_f32_f16 v60, v78, v86, v60
	;;#ASMEND
	;;#ASMSTART
	v_dot2_f32_f16 v60, v79, v87, v60
	;;#ASMEND
	s_wait_dscnt 0x2
	;;#ASMSTART
	v_dot2_f32_f16 v61, v76, v88, v61
	;;#ASMEND
	;;#ASMSTART
	v_dot2_f32_f16 v61, v77, v89, v61
	;;#ASMEND
	;;#ASMSTART
	v_dot2_f32_f16 v61, v78, v90, v61
	;;#ASMEND
	;;#ASMSTART
	v_dot2_f32_f16 v61, v79, v91, v61
	;;#ASMEND
	s_wait_dscnt 0x1
	;;#ASMSTART
	v_dot2_f32_f16 v62, v76, v92, v62
	;;#ASMEND
	;;#ASMSTART
	v_dot2_f32_f16 v62, v77, v93, v62
	;;#ASMEND
	;;#ASMSTART
	v_dot2_f32_f16 v62, v78, v94, v62
	;;#ASMEND
	;;#ASMSTART
	v_dot2_f32_f16 v62, v79, v95, v62
	;;#ASMEND
	s_wait_dscnt 0x0
	;;#ASMSTART
	v_dot2_f32_f16 v63, v96, v80, v63
	;;#ASMEND
	;;#ASMSTART
	v_dot2_f32_f16 v63, v97, v81, v63
	;;#ASMEND
	;;#ASMSTART
	v_dot2_f32_f16 v63, v98, v82, v63
	;;#ASMEND
	;;#ASMSTART
	v_dot2_f32_f16 v63, v99, v83, v63
	;;#ASMEND
	;;#ASMSTART
	v_dot2_f32_f16 v64, v96, v84, v64
	;;#ASMEND
	;;#ASMSTART
	v_dot2_f32_f16 v64, v97, v85, v64
	;;#ASMEND
	;; [unrolled: 3-line block ×12, first 2 shown]
	ds_load_b128 v[76:79], v36 offset:32
	ds_load_b128 v[80:83], v11 offset:160
	;; [unrolled: 1-line block ×6, first 2 shown]
	s_wait_dscnt 0x4
	;;#ASMSTART
	v_dot2_f32_f16 v59, v76, v80, v59
	;;#ASMEND
	;;#ASMSTART
	v_dot2_f32_f16 v59, v77, v81, v59
	;;#ASMEND
	;;#ASMSTART
	v_dot2_f32_f16 v59, v78, v82, v59
	;;#ASMEND
	;;#ASMSTART
	v_dot2_f32_f16 v59, v79, v83, v59
	;;#ASMEND
	s_wait_dscnt 0x3
	;;#ASMSTART
	v_dot2_f32_f16 v60, v76, v84, v60
	;;#ASMEND
	;;#ASMSTART
	v_dot2_f32_f16 v60, v77, v85, v60
	;;#ASMEND
	;;#ASMSTART
	v_dot2_f32_f16 v60, v78, v86, v60
	;;#ASMEND
	;;#ASMSTART
	v_dot2_f32_f16 v60, v79, v87, v60
	;;#ASMEND
	;; [unrolled: 13-line block ×5, first 2 shown]
	;;#ASMSTART
	v_dot2_f32_f16 v64, v96, v84, v64
	;;#ASMEND
	;;#ASMSTART
	v_dot2_f32_f16 v64, v97, v85, v64
	;;#ASMEND
	;; [unrolled: 3-line block ×12, first 2 shown]
	ds_load_b128 v[76:79], v36 offset:48
	ds_load_b128 v[80:83], v11 offset:176
	;; [unrolled: 1-line block ×6, first 2 shown]
	s_wait_dscnt 0x4
	;;#ASMSTART
	v_dot2_f32_f16 v59, v76, v80, v59
	;;#ASMEND
	;;#ASMSTART
	v_dot2_f32_f16 v59, v77, v81, v59
	;;#ASMEND
	;;#ASMSTART
	v_dot2_f32_f16 v59, v78, v82, v59
	;;#ASMEND
	;;#ASMSTART
	v_dot2_f32_f16 v59, v79, v83, v59
	;;#ASMEND
	s_wait_dscnt 0x3
	;;#ASMSTART
	v_dot2_f32_f16 v60, v76, v84, v60
	;;#ASMEND
	;;#ASMSTART
	v_dot2_f32_f16 v60, v77, v85, v60
	;;#ASMEND
	;;#ASMSTART
	v_dot2_f32_f16 v60, v78, v86, v60
	;;#ASMEND
	;;#ASMSTART
	v_dot2_f32_f16 v60, v79, v87, v60
	;;#ASMEND
	;; [unrolled: 13-line block ×5, first 2 shown]
	;;#ASMSTART
	v_dot2_f32_f16 v64, v96, v84, v64
	;;#ASMEND
	;;#ASMSTART
	v_dot2_f32_f16 v64, v97, v85, v64
	;;#ASMEND
	;; [unrolled: 3-line block ×12, first 2 shown]
	ds_load_b128 v[76:79], v36 offset:64
	ds_load_b128 v[80:83], v11 offset:192
	;; [unrolled: 1-line block ×6, first 2 shown]
	s_wait_dscnt 0x4
	;;#ASMSTART
	v_dot2_f32_f16 v59, v76, v80, v59
	;;#ASMEND
	;;#ASMSTART
	v_dot2_f32_f16 v59, v77, v81, v59
	;;#ASMEND
	;;#ASMSTART
	v_dot2_f32_f16 v59, v78, v82, v59
	;;#ASMEND
	;;#ASMSTART
	v_dot2_f32_f16 v59, v79, v83, v59
	;;#ASMEND
	s_wait_dscnt 0x3
	;;#ASMSTART
	v_dot2_f32_f16 v60, v76, v84, v60
	;;#ASMEND
	;;#ASMSTART
	v_dot2_f32_f16 v60, v77, v85, v60
	;;#ASMEND
	;;#ASMSTART
	v_dot2_f32_f16 v60, v78, v86, v60
	;;#ASMEND
	;;#ASMSTART
	v_dot2_f32_f16 v60, v79, v87, v60
	;;#ASMEND
	;; [unrolled: 13-line block ×5, first 2 shown]
	;;#ASMSTART
	v_dot2_f32_f16 v64, v96, v84, v64
	;;#ASMEND
	;;#ASMSTART
	v_dot2_f32_f16 v64, v97, v85, v64
	;;#ASMEND
	;; [unrolled: 3-line block ×12, first 2 shown]
	ds_load_b128 v[76:79], v36 offset:80
	ds_load_b128 v[80:83], v11 offset:208
	;; [unrolled: 1-line block ×6, first 2 shown]
	s_wait_dscnt 0x4
	;;#ASMSTART
	v_dot2_f32_f16 v59, v76, v80, v59
	;;#ASMEND
	;;#ASMSTART
	v_dot2_f32_f16 v59, v77, v81, v59
	;;#ASMEND
	;;#ASMSTART
	v_dot2_f32_f16 v59, v78, v82, v59
	;;#ASMEND
	;;#ASMSTART
	v_dot2_f32_f16 v59, v79, v83, v59
	;;#ASMEND
	s_wait_dscnt 0x3
	;;#ASMSTART
	v_dot2_f32_f16 v60, v76, v84, v60
	;;#ASMEND
	;;#ASMSTART
	v_dot2_f32_f16 v60, v77, v85, v60
	;;#ASMEND
	;;#ASMSTART
	v_dot2_f32_f16 v60, v78, v86, v60
	;;#ASMEND
	;;#ASMSTART
	v_dot2_f32_f16 v60, v79, v87, v60
	;;#ASMEND
	s_wait_dscnt 0x2
	;;#ASMSTART
	v_dot2_f32_f16 v61, v76, v88, v61
	;;#ASMEND
	;;#ASMSTART
	v_dot2_f32_f16 v61, v77, v89, v61
	;;#ASMEND
	;;#ASMSTART
	v_dot2_f32_f16 v61, v78, v90, v61
	;;#ASMEND
	;;#ASMSTART
	v_dot2_f32_f16 v61, v79, v91, v61
	;;#ASMEND
	s_wait_dscnt 0x1
	;;#ASMSTART
	v_dot2_f32_f16 v62, v76, v92, v62
	;;#ASMEND
	;;#ASMSTART
	v_dot2_f32_f16 v62, v77, v93, v62
	;;#ASMEND
	;;#ASMSTART
	v_dot2_f32_f16 v62, v78, v94, v62
	;;#ASMEND
	;;#ASMSTART
	v_dot2_f32_f16 v62, v79, v95, v62
	;;#ASMEND
	s_wait_dscnt 0x0
	;;#ASMSTART
	v_dot2_f32_f16 v63, v96, v80, v63
	;;#ASMEND
	;;#ASMSTART
	v_dot2_f32_f16 v63, v97, v81, v63
	;;#ASMEND
	;;#ASMSTART
	v_dot2_f32_f16 v63, v98, v82, v63
	;;#ASMEND
	;;#ASMSTART
	v_dot2_f32_f16 v63, v99, v83, v63
	;;#ASMEND
	;;#ASMSTART
	v_dot2_f32_f16 v64, v96, v84, v64
	;;#ASMEND
	;;#ASMSTART
	v_dot2_f32_f16 v64, v97, v85, v64
	;;#ASMEND
	;; [unrolled: 3-line block ×12, first 2 shown]
	ds_load_b128 v[76:79], v36 offset:96
	ds_load_b128 v[80:83], v11 offset:224
	;; [unrolled: 1-line block ×6, first 2 shown]
	s_wait_dscnt 0x4
	;;#ASMSTART
	v_dot2_f32_f16 v59, v76, v80, v59
	;;#ASMEND
	;;#ASMSTART
	v_dot2_f32_f16 v59, v77, v81, v59
	;;#ASMEND
	;;#ASMSTART
	v_dot2_f32_f16 v59, v78, v82, v59
	;;#ASMEND
	;;#ASMSTART
	v_dot2_f32_f16 v59, v79, v83, v59
	;;#ASMEND
	s_wait_dscnt 0x3
	;;#ASMSTART
	v_dot2_f32_f16 v60, v76, v84, v60
	;;#ASMEND
	;;#ASMSTART
	v_dot2_f32_f16 v60, v77, v85, v60
	;;#ASMEND
	;;#ASMSTART
	v_dot2_f32_f16 v60, v78, v86, v60
	;;#ASMEND
	;;#ASMSTART
	v_dot2_f32_f16 v60, v79, v87, v60
	;;#ASMEND
	;; [unrolled: 13-line block ×5, first 2 shown]
	;;#ASMSTART
	v_dot2_f32_f16 v64, v96, v84, v64
	;;#ASMEND
	;;#ASMSTART
	v_dot2_f32_f16 v64, v97, v85, v64
	;;#ASMEND
	;; [unrolled: 3-line block ×12, first 2 shown]
	ds_load_b128 v[76:79], v36 offset:112
	ds_load_b128 v[80:83], v11 offset:240
	;; [unrolled: 1-line block ×6, first 2 shown]
	s_wait_dscnt 0x4
	;;#ASMSTART
	v_dot2_f32_f16 v59, v76, v80, v59
	;;#ASMEND
	;;#ASMSTART
	v_dot2_f32_f16 v59, v77, v81, v59
	;;#ASMEND
	;;#ASMSTART
	v_dot2_f32_f16 v59, v78, v82, v59
	;;#ASMEND
	;;#ASMSTART
	v_dot2_f32_f16 v59, v79, v83, v59
	;;#ASMEND
	s_wait_dscnt 0x3
	;;#ASMSTART
	v_dot2_f32_f16 v60, v76, v84, v60
	;;#ASMEND
	;;#ASMSTART
	v_dot2_f32_f16 v60, v77, v85, v60
	;;#ASMEND
	;;#ASMSTART
	v_dot2_f32_f16 v60, v78, v86, v60
	;;#ASMEND
	;;#ASMSTART
	v_dot2_f32_f16 v60, v79, v87, v60
	;;#ASMEND
	;; [unrolled: 13-line block ×5, first 2 shown]
	;;#ASMSTART
	v_dot2_f32_f16 v64, v96, v84, v64
	;;#ASMEND
	;;#ASMSTART
	v_dot2_f32_f16 v64, v97, v85, v64
	;;#ASMEND
	;; [unrolled: 3-line block ×12, first 2 shown]
	s_wait_loadcnt 0x0
	s_barrier_signal -1
	s_barrier_wait -1
	global_inv scope:SCOPE_SE
	s_clause 0x1
	global_load_b128 v[76:79], v[22:23], off offset:256
	global_load_b128 v[22:25], v[24:25], off offset:256
	s_wait_loadcnt 0x1
	ds_store_b128 v34, v[76:79]
	s_wait_loadcnt 0x0
	ds_store_b128 v35, v[22:25]
	s_wait_dscnt 0x0
	s_barrier_signal -1
	s_barrier_wait -1
	global_inv scope:SCOPE_SE
	ds_load_b128 v[22:25], v36
	ds_load_b128 v[76:79], v11 offset:256
	ds_load_b128 v[80:83], v11 offset:640
	;; [unrolled: 1-line block ×5, first 2 shown]
	s_wait_dscnt 0x4
	;;#ASMSTART
	v_dot2_f32_f16 v59, v22, v76, v59
	;;#ASMEND
	;;#ASMSTART
	v_dot2_f32_f16 v59, v23, v77, v59
	;;#ASMEND
	;;#ASMSTART
	v_dot2_f32_f16 v59, v24, v78, v59
	;;#ASMEND
	;;#ASMSTART
	v_dot2_f32_f16 v59, v25, v79, v59
	;;#ASMEND
	s_wait_dscnt 0x3
	;;#ASMSTART
	v_dot2_f32_f16 v60, v22, v80, v60
	;;#ASMEND
	;;#ASMSTART
	v_dot2_f32_f16 v60, v23, v81, v60
	;;#ASMEND
	;;#ASMSTART
	v_dot2_f32_f16 v60, v24, v82, v60
	;;#ASMEND
	;;#ASMSTART
	v_dot2_f32_f16 v60, v25, v83, v60
	;;#ASMEND
	;; [unrolled: 13-line block ×5, first 2 shown]
	;;#ASMSTART
	v_dot2_f32_f16 v64, v92, v80, v64
	;;#ASMEND
	;;#ASMSTART
	v_dot2_f32_f16 v64, v93, v81, v64
	;;#ASMEND
	;; [unrolled: 3-line block ×12, first 2 shown]
	ds_load_b128 v[22:25], v36 offset:16
	ds_load_b128 v[76:79], v11 offset:272
	;; [unrolled: 1-line block ×6, first 2 shown]
	s_wait_dscnt 0x4
	;;#ASMSTART
	v_dot2_f32_f16 v59, v22, v76, v59
	;;#ASMEND
	;;#ASMSTART
	v_dot2_f32_f16 v59, v23, v77, v59
	;;#ASMEND
	;;#ASMSTART
	v_dot2_f32_f16 v59, v24, v78, v59
	;;#ASMEND
	;;#ASMSTART
	v_dot2_f32_f16 v59, v25, v79, v59
	;;#ASMEND
	s_wait_dscnt 0x3
	;;#ASMSTART
	v_dot2_f32_f16 v60, v22, v80, v60
	;;#ASMEND
	;;#ASMSTART
	v_dot2_f32_f16 v60, v23, v81, v60
	;;#ASMEND
	;;#ASMSTART
	v_dot2_f32_f16 v60, v24, v82, v60
	;;#ASMEND
	;;#ASMSTART
	v_dot2_f32_f16 v60, v25, v83, v60
	;;#ASMEND
	;; [unrolled: 13-line block ×5, first 2 shown]
	;;#ASMSTART
	v_dot2_f32_f16 v64, v92, v80, v64
	;;#ASMEND
	;;#ASMSTART
	v_dot2_f32_f16 v64, v93, v81, v64
	;;#ASMEND
	;;#ASMSTART
	v_dot2_f32_f16 v64, v94, v82, v64
	;;#ASMEND
	;;#ASMSTART
	v_dot2_f32_f16 v64, v95, v83, v64
	;;#ASMEND
	;;#ASMSTART
	v_dot2_f32_f16 v65, v92, v84, v65
	;;#ASMEND
	;;#ASMSTART
	v_dot2_f32_f16 v65, v93, v85, v65
	;;#ASMEND
	;;#ASMSTART
	v_dot2_f32_f16 v65, v94, v86, v65
	;;#ASMEND
	;;#ASMSTART
	v_dot2_f32_f16 v65, v95, v87, v65
	;;#ASMEND
	;;#ASMSTART
	v_dot2_f32_f16 v66, v92, v88, v66
	;;#ASMEND
	;;#ASMSTART
	v_dot2_f32_f16 v66, v93, v89, v66
	;;#ASMEND
	;;#ASMSTART
	v_dot2_f32_f16 v66, v94, v90, v66
	;;#ASMEND
	;;#ASMSTART
	v_dot2_f32_f16 v66, v95, v91, v66
	;;#ASMEND
	ds_load_b128 v[22:25], v36 offset:32
	ds_load_b128 v[76:79], v11 offset:288
	;; [unrolled: 1-line block ×6, first 2 shown]
	s_wait_dscnt 0x4
	;;#ASMSTART
	v_dot2_f32_f16 v59, v22, v76, v59
	;;#ASMEND
	;;#ASMSTART
	v_dot2_f32_f16 v59, v23, v77, v59
	;;#ASMEND
	;;#ASMSTART
	v_dot2_f32_f16 v59, v24, v78, v59
	;;#ASMEND
	;;#ASMSTART
	v_dot2_f32_f16 v59, v25, v79, v59
	;;#ASMEND
	s_wait_dscnt 0x3
	;;#ASMSTART
	v_dot2_f32_f16 v60, v22, v80, v60
	;;#ASMEND
	;;#ASMSTART
	v_dot2_f32_f16 v60, v23, v81, v60
	;;#ASMEND
	;;#ASMSTART
	v_dot2_f32_f16 v60, v24, v82, v60
	;;#ASMEND
	;;#ASMSTART
	v_dot2_f32_f16 v60, v25, v83, v60
	;;#ASMEND
	;; [unrolled: 13-line block ×5, first 2 shown]
	;;#ASMSTART
	v_dot2_f32_f16 v64, v92, v80, v64
	;;#ASMEND
	;;#ASMSTART
	v_dot2_f32_f16 v64, v93, v81, v64
	;;#ASMEND
	;; [unrolled: 3-line block ×12, first 2 shown]
	ds_load_b128 v[22:25], v36 offset:48
	ds_load_b128 v[76:79], v11 offset:304
	;; [unrolled: 1-line block ×6, first 2 shown]
	s_wait_dscnt 0x4
	;;#ASMSTART
	v_dot2_f32_f16 v59, v22, v76, v59
	;;#ASMEND
	;;#ASMSTART
	v_dot2_f32_f16 v59, v23, v77, v59
	;;#ASMEND
	;;#ASMSTART
	v_dot2_f32_f16 v59, v24, v78, v59
	;;#ASMEND
	;;#ASMSTART
	v_dot2_f32_f16 v59, v25, v79, v59
	;;#ASMEND
	s_wait_dscnt 0x3
	;;#ASMSTART
	v_dot2_f32_f16 v60, v22, v80, v60
	;;#ASMEND
	;;#ASMSTART
	v_dot2_f32_f16 v60, v23, v81, v60
	;;#ASMEND
	;;#ASMSTART
	v_dot2_f32_f16 v60, v24, v82, v60
	;;#ASMEND
	;;#ASMSTART
	v_dot2_f32_f16 v60, v25, v83, v60
	;;#ASMEND
	;; [unrolled: 13-line block ×5, first 2 shown]
	;;#ASMSTART
	v_dot2_f32_f16 v64, v92, v80, v64
	;;#ASMEND
	;;#ASMSTART
	v_dot2_f32_f16 v64, v93, v81, v64
	;;#ASMEND
	;; [unrolled: 3-line block ×12, first 2 shown]
	ds_load_b128 v[22:25], v36 offset:64
	ds_load_b128 v[76:79], v11 offset:320
	;; [unrolled: 1-line block ×6, first 2 shown]
	s_wait_dscnt 0x4
	;;#ASMSTART
	v_dot2_f32_f16 v59, v22, v76, v59
	;;#ASMEND
	;;#ASMSTART
	v_dot2_f32_f16 v59, v23, v77, v59
	;;#ASMEND
	;;#ASMSTART
	v_dot2_f32_f16 v59, v24, v78, v59
	;;#ASMEND
	;;#ASMSTART
	v_dot2_f32_f16 v59, v25, v79, v59
	;;#ASMEND
	s_wait_dscnt 0x3
	;;#ASMSTART
	v_dot2_f32_f16 v60, v22, v80, v60
	;;#ASMEND
	;;#ASMSTART
	v_dot2_f32_f16 v60, v23, v81, v60
	;;#ASMEND
	;;#ASMSTART
	v_dot2_f32_f16 v60, v24, v82, v60
	;;#ASMEND
	;;#ASMSTART
	v_dot2_f32_f16 v60, v25, v83, v60
	;;#ASMEND
	s_wait_dscnt 0x2
	;;#ASMSTART
	v_dot2_f32_f16 v61, v22, v84, v61
	;;#ASMEND
	;;#ASMSTART
	v_dot2_f32_f16 v61, v23, v85, v61
	;;#ASMEND
	;;#ASMSTART
	v_dot2_f32_f16 v61, v24, v86, v61
	;;#ASMEND
	;;#ASMSTART
	v_dot2_f32_f16 v61, v25, v87, v61
	;;#ASMEND
	s_wait_dscnt 0x1
	;;#ASMSTART
	v_dot2_f32_f16 v62, v22, v88, v62
	;;#ASMEND
	;;#ASMSTART
	v_dot2_f32_f16 v62, v23, v89, v62
	;;#ASMEND
	;;#ASMSTART
	v_dot2_f32_f16 v62, v24, v90, v62
	;;#ASMEND
	;;#ASMSTART
	v_dot2_f32_f16 v62, v25, v91, v62
	;;#ASMEND
	s_wait_dscnt 0x0
	;;#ASMSTART
	v_dot2_f32_f16 v63, v92, v76, v63
	;;#ASMEND
	;;#ASMSTART
	v_dot2_f32_f16 v63, v93, v77, v63
	;;#ASMEND
	;;#ASMSTART
	v_dot2_f32_f16 v63, v94, v78, v63
	;;#ASMEND
	;;#ASMSTART
	v_dot2_f32_f16 v63, v95, v79, v63
	;;#ASMEND
	;;#ASMSTART
	v_dot2_f32_f16 v64, v92, v80, v64
	;;#ASMEND
	;;#ASMSTART
	v_dot2_f32_f16 v64, v93, v81, v64
	;;#ASMEND
	;; [unrolled: 3-line block ×12, first 2 shown]
	ds_load_b128 v[22:25], v36 offset:80
	ds_load_b128 v[76:79], v11 offset:336
	;; [unrolled: 1-line block ×6, first 2 shown]
	s_wait_dscnt 0x4
	;;#ASMSTART
	v_dot2_f32_f16 v59, v22, v76, v59
	;;#ASMEND
	;;#ASMSTART
	v_dot2_f32_f16 v59, v23, v77, v59
	;;#ASMEND
	;;#ASMSTART
	v_dot2_f32_f16 v59, v24, v78, v59
	;;#ASMEND
	;;#ASMSTART
	v_dot2_f32_f16 v59, v25, v79, v59
	;;#ASMEND
	s_wait_dscnt 0x3
	;;#ASMSTART
	v_dot2_f32_f16 v60, v22, v80, v60
	;;#ASMEND
	;;#ASMSTART
	v_dot2_f32_f16 v60, v23, v81, v60
	;;#ASMEND
	;;#ASMSTART
	v_dot2_f32_f16 v60, v24, v82, v60
	;;#ASMEND
	;;#ASMSTART
	v_dot2_f32_f16 v60, v25, v83, v60
	;;#ASMEND
	;; [unrolled: 13-line block ×5, first 2 shown]
	;;#ASMSTART
	v_dot2_f32_f16 v64, v92, v80, v64
	;;#ASMEND
	;;#ASMSTART
	v_dot2_f32_f16 v64, v93, v81, v64
	;;#ASMEND
	;; [unrolled: 3-line block ×12, first 2 shown]
	ds_load_b128 v[22:25], v36 offset:96
	ds_load_b128 v[76:79], v11 offset:352
	;; [unrolled: 1-line block ×6, first 2 shown]
	s_wait_dscnt 0x4
	;;#ASMSTART
	v_dot2_f32_f16 v59, v22, v76, v59
	;;#ASMEND
	;;#ASMSTART
	v_dot2_f32_f16 v59, v23, v77, v59
	;;#ASMEND
	;;#ASMSTART
	v_dot2_f32_f16 v59, v24, v78, v59
	;;#ASMEND
	;;#ASMSTART
	v_dot2_f32_f16 v59, v25, v79, v59
	;;#ASMEND
	s_wait_dscnt 0x3
	;;#ASMSTART
	v_dot2_f32_f16 v60, v22, v80, v60
	;;#ASMEND
	;;#ASMSTART
	v_dot2_f32_f16 v60, v23, v81, v60
	;;#ASMEND
	;;#ASMSTART
	v_dot2_f32_f16 v60, v24, v82, v60
	;;#ASMEND
	;;#ASMSTART
	v_dot2_f32_f16 v60, v25, v83, v60
	;;#ASMEND
	;; [unrolled: 13-line block ×5, first 2 shown]
	;;#ASMSTART
	v_dot2_f32_f16 v64, v92, v80, v64
	;;#ASMEND
	;;#ASMSTART
	v_dot2_f32_f16 v64, v93, v81, v64
	;;#ASMEND
	;; [unrolled: 3-line block ×12, first 2 shown]
	ds_load_b128 v[22:25], v36 offset:112
	ds_load_b128 v[76:79], v11 offset:368
	ds_load_b128 v[80:83], v11 offset:752
	ds_load_b128 v[84:87], v11 offset:1136
	ds_load_b128 v[88:91], v11 offset:1520
	ds_load_b128 v[92:95], v36 offset:4720
	s_wait_dscnt 0x4
	;;#ASMSTART
	v_dot2_f32_f16 v59, v22, v76, v59
	;;#ASMEND
	;;#ASMSTART
	v_dot2_f32_f16 v59, v23, v77, v59
	;;#ASMEND
	;;#ASMSTART
	v_dot2_f32_f16 v59, v24, v78, v59
	;;#ASMEND
	;;#ASMSTART
	v_dot2_f32_f16 v59, v25, v79, v59
	;;#ASMEND
	s_wait_dscnt 0x3
	;;#ASMSTART
	v_dot2_f32_f16 v60, v22, v80, v60
	;;#ASMEND
	;;#ASMSTART
	v_dot2_f32_f16 v60, v23, v81, v60
	;;#ASMEND
	;;#ASMSTART
	v_dot2_f32_f16 v60, v24, v82, v60
	;;#ASMEND
	;;#ASMSTART
	v_dot2_f32_f16 v60, v25, v83, v60
	;;#ASMEND
	;; [unrolled: 13-line block ×5, first 2 shown]
	;;#ASMSTART
	v_dot2_f32_f16 v64, v92, v80, v64
	;;#ASMEND
	;;#ASMSTART
	v_dot2_f32_f16 v64, v93, v81, v64
	;;#ASMEND
	;; [unrolled: 3-line block ×12, first 2 shown]
	s_clause 0x1
	global_load_u16 v22, v[20:21], off
	global_load_u16 v20, v[20:21], off offset:64
	s_wait_loadcnt 0x0
	s_barrier_signal -1
	s_barrier_wait -1
	global_inv scope:SCOPE_SE
	s_clause 0x1
	global_load_b128 v[76:79], v[0:1], off
	global_load_b128 v[80:83], v[2:3], off
	v_cvt_f32_f16_e32 v0, v22
	v_cvt_f32_f16_e32 v1, v20
	s_delay_alu instid0(VALU_DEP_2) | instskip(NEXT) | instid1(VALU_DEP_2)
	v_add_f32_e32 v20, v59, v0
	v_dual_add_f32 v21, v63, v1 :: v_dual_add_f32 v22, v60, v0
	v_add_f32_e32 v25, v65, v1
	v_dual_add_f32 v23, v64, v1 :: v_dual_add_f32 v24, v61, v0
	v_add_f32_e32 v59, v62, v0
	v_add_f32_e32 v60, v66, v1
	v_dual_add_f32 v0, 0x40051340, v20 :: v_dual_add_f32 v1, 0x40051340, v21
	s_delay_alu instid0(VALU_DEP_4) | instskip(SKIP_2) | instid1(VALU_DEP_4)
	v_dual_add_f32 v2, 0x40051340, v22 :: v_dual_add_f32 v61, 0x40051340, v24
	v_dual_add_f32 v3, 0x40051340, v23 :: v_dual_add_f32 v62, 0x40051340, v25
	v_add_f32_e32 v63, 0x40051340, v59
	v_max3_num_f32 v0, v58, v0, v1
	s_delay_alu instid0(VALU_DEP_3) | instskip(NEXT) | instid1(VALU_DEP_4)
	v_max3_num_f32 v1, v57, v2, v3
	v_max3_num_f32 v2, v56, v61, v62
	ds_bpermute_b32 v61, v75, v0
	v_add_f32_e32 v64, 0x40051340, v60
	ds_bpermute_b32 v62, v75, v1
	s_wait_dscnt 0x1
	v_max_num_f32_e32 v61, v61, v61
	v_max3_num_f32 v3, v55, v63, v64
	ds_bpermute_b32 v63, v75, v2
	s_wait_dscnt 0x1
	v_max_num_f32_e32 v62, v62, v62
	ds_bpermute_b32 v64, v75, v3
	s_wait_dscnt 0x1
	v_max_num_f32_e32 v63, v63, v63
	s_wait_dscnt 0x0
	v_dual_max_num_f32 v1, v1, v62 :: v_dual_max_num_f32 v64, v64, v64
	v_max_num_f32_e32 v0, v0, v61
	ds_bpermute_b32 v62, v74, v1
	v_max_num_f32_e32 v3, v3, v64
	ds_bpermute_b32 v61, v74, v0
	v_max_num_f32_e32 v2, v2, v63
	ds_bpermute_b32 v64, v74, v3
	s_wait_dscnt 0x1
	v_max_num_f32_e32 v61, v61, v61
	ds_bpermute_b32 v63, v74, v2
	s_wait_dscnt 0x0
	v_dual_max_num_f32 v62, v62, v62 :: v_dual_max_num_f32 v63, v63, v63
	s_delay_alu instid0(VALU_DEP_1) | instskip(NEXT) | instid1(VALU_DEP_1)
	v_dual_max_num_f32 v64, v64, v64 :: v_dual_max_num_f32 v1, v1, v62
	v_dual_max_num_f32 v0, v0, v61 :: v_dual_max_num_f32 v3, v3, v64
	ds_bpermute_b32 v62, v73, v1
	ds_bpermute_b32 v61, v73, v0
	v_max_num_f32_e32 v2, v2, v63
	ds_bpermute_b32 v64, v73, v3
	s_wait_dscnt 0x1
	v_max_num_f32_e32 v61, v61, v61
	ds_bpermute_b32 v63, v73, v2
	s_wait_dscnt 0x0
	v_dual_max_num_f32 v62, v62, v62 :: v_dual_max_num_f32 v63, v63, v63
	s_delay_alu instid0(VALU_DEP_1) | instskip(NEXT) | instid1(VALU_DEP_1)
	v_dual_max_num_f32 v64, v64, v64 :: v_dual_max_num_f32 v1, v1, v62
	v_dual_max_num_f32 v0, v0, v61 :: v_dual_max_num_f32 v3, v3, v64
	ds_bpermute_b32 v62, v72, v1
	ds_bpermute_b32 v61, v72, v0
	v_max_num_f32_e32 v2, v2, v63
	ds_bpermute_b32 v64, v72, v3
	;; [unrolled: 12-line block ×3, first 2 shown]
	s_wait_dscnt 0x1
	v_max_num_f32_e32 v61, v61, v61
	ds_bpermute_b32 v63, v71, v2
	s_wait_dscnt 0x0
	v_dual_max_num_f32 v62, v62, v62 :: v_dual_max_num_f32 v63, v63, v63
	s_delay_alu instid0(VALU_DEP_1) | instskip(NEXT) | instid1(VALU_DEP_1)
	v_dual_max_num_f32 v64, v64, v64 :: v_dual_max_num_f32 v1, v1, v62
	v_dual_max_num_f32 v0, v0, v61 :: v_dual_max_num_f32 v3, v3, v64
	s_delay_alu instid0(VALU_DEP_1) | instskip(NEXT) | instid1(VALU_DEP_3)
	v_dual_max_num_f32 v2, v2, v63 :: v_dual_sub_f32 v21, v21, v0
	v_dual_sub_f32 v58, v58, v0 :: v_dual_sub_f32 v57, v57, v1
	v_dual_sub_f32 v20, v20, v0 :: v_dual_sub_f32 v23, v23, v1
	s_delay_alu instid0(VALU_DEP_3) | instskip(SKIP_2) | instid1(VALU_DEP_4)
	v_dual_sub_f32 v22, v22, v1 :: v_dual_sub_f32 v25, v25, v2
	v_dual_sub_f32 v56, v56, v2 :: v_dual_sub_f32 v55, v55, v3
	;; [unrolled: 1-line block ×3, first 2 shown]
	v_dual_sub_f32 v60, v60, v3 :: v_dual_mul_f32 v61, 0x3fb8aa3b, v20
	v_dual_mul_f32 v62, 0x3fb8aa3b, v21 :: v_dual_mul_f32 v63, 0x3fb8aa3b, v58
	v_dual_mul_f32 v64, 0x3fb8aa3b, v22 :: v_dual_mul_f32 v65, 0x3fb8aa3b, v23
	s_delay_alu instid0(VALU_DEP_4)
	v_dual_mul_f32 v66, 0x3fb8aa3b, v57 :: v_dual_mul_f32 v71, 0x3fb8aa3b, v24
	v_dual_mul_f32 v72, 0x3fb8aa3b, v25 :: v_dual_mul_f32 v73, 0x3fb8aa3b, v56
	v_fma_f32 v85, 0x3fb8aa3b, v20, -v61
	v_rndne_f32_e32 v86, v61
	v_fma_f32 v89, 0x3fb8aa3b, v58, -v63
	v_fma_f32 v91, 0x3fb8aa3b, v22, -v64
	v_rndne_f32_e32 v92, v64
	v_dual_mul_f32 v74, 0x3fb8aa3b, v59 :: v_dual_mul_f32 v75, 0x3fb8aa3b, v60
	v_cmp_ngt_f32_e64 s3, 0xc2ce8ed0, v22
	v_cmp_ngt_f32_e64 s12, 0xc2ce8ed0, v20
	v_cmp_nlt_f32_e64 s15, 0x42b17218, v22
	v_cmp_nlt_f32_e64 s24, 0x42b17218, v20
	v_fma_f32 v87, 0x3fb8aa3b, v21, -v62
	v_rndne_f32_e32 v90, v63
	v_fma_f32 v93, 0x3fb8aa3b, v23, -v65
	v_rndne_f32_e32 v94, v65
	v_fma_f32 v95, 0x3fb8aa3b, v57, -v66
	v_fma_f32 v97, 0x3fb8aa3b, v24, -v71
	v_rndne_f32_e32 v98, v71
	v_fma_f32 v101, 0x3fb8aa3b, v56, -v73
	v_rndne_f32_e32 v102, v73
	v_dual_fmac_f32 v85, 0x32a5705f, v20 :: v_dual_sub_f32 v20, v61, v86
	v_fmac_f32_e32 v89, 0x32a5705f, v58
	v_dual_fmac_f32 v91, 0x32a5705f, v22 :: v_dual_sub_f32 v22, v64, v92
	v_cmp_ngt_f32_e64 s2, 0xc2ce8ed0, v58
	v_cmp_ngt_f32_e64 s4, 0xc2ce8ed0, v23
	;; [unrolled: 1-line block ×4, first 2 shown]
	v_cmp_nlt_f32_e64 s14, 0x42b17218, v58
	v_cmp_nlt_f32_e64 s16, 0x42b17218, v23
	;; [unrolled: 1-line block ×4, first 2 shown]
	v_fma_f32 v103, 0x3fb8aa3b, v59, -v74
	v_dual_fmac_f32 v87, 0x32a5705f, v21 :: v_dual_sub_f32 v58, v63, v90
	v_fmac_f32_e32 v93, 0x32a5705f, v23
	v_sub_f32_e32 v23, v65, v94
	v_fmac_f32_e32 v95, 0x32a5705f, v57
	v_dual_add_f32 v20, v20, v85 :: v_dual_fmac_f32 v97, 0x32a5705f, v24
	v_add_f32_e32 v22, v22, v91
	v_dual_sub_f32 v24, v71, v98 :: v_dual_fmac_f32 v101, 0x32a5705f, v56
	v_sub_f32_e32 v56, v73, v102
	v_rndne_f32_e32 v88, v62
	v_add_f32_e32 v58, v58, v89
	v_add_f32_e32 v23, v23, v93
	v_dual_add_f32 v24, v24, v97 :: v_dual_fmac_f32 v103, 0x32a5705f, v59
	v_add_f32_e32 v56, v56, v101
	v_mul_f32_e32 v84, 0x3fb8aa3b, v55
	v_cmp_ngt_f32_e32 vcc_lo, 0xc2ce8ed0, v21
	v_cmp_nlt_f32_e64 s13, 0x42b17218, v21
	v_sub_f32_e32 v21, v62, v88
	v_exp_f32_e32 v22, v22
	v_exp_f32_e32 v23, v23
	;; [unrolled: 1-line block ×3, first 2 shown]
	v_cvt_i32_f32_e32 v64, v92
	v_cvt_i32_f32_e32 v65, v94
	;; [unrolled: 1-line block ×3, first 2 shown]
	v_add_f32_e32 v21, v21, v87
	v_exp_f32_e32 v20, v20
	v_fma_f32 v99, 0x3fb8aa3b, v25, -v72
	v_rndne_f32_e32 v100, v72
	v_ldexp_f32 v22, v22, v64
	v_exp_f32_e32 v21, v21
	v_ldexp_f32 v23, v23, v65
	v_ldexp_f32 v56, v56, v73
	v_cvt_i32_f32_e32 v61, v86
	v_cvt_i32_f32_e32 v62, v88
	s_wait_alu 0xf1ff
	v_cndmask_b32_e64 v22, 0, v22, s3
	v_cndmask_b32_e64 v23, 0, v23, s4
	;; [unrolled: 1-line block ×3, first 2 shown]
	v_cmp_ngt_f32_e64 s7, 0xc2ce8ed0, v25
	v_cmp_nlt_f32_e64 s19, 0x42b17218, v25
	v_ldexp_f32 v20, v20, v61
	v_ldexp_f32 v21, v21, v62
	v_cndmask_b32_e64 v22, 0x7f800000, v22, s15
	v_cndmask_b32_e64 v61, 0x7f800000, v23, s16
	;; [unrolled: 1-line block ×3, first 2 shown]
	v_fmac_f32_e32 v99, 0x32a5705f, v25
	v_sub_f32_e32 v25, v72, v100
	v_cvt_f16_f32_e32 v56, v22
	v_add_f32_e32 v22, v22, v61
	v_exp_f32_e32 v24, v24
	v_cvt_i32_f32_e32 v71, v98
	v_add_f32_e32 v25, v25, v99
	v_cvt_i32_f32_e32 v72, v100
	v_rndne_f32_e32 v96, v66
	v_cmp_ngt_f32_e64 s5, 0xc2ce8ed0, v57
	v_cmp_nlt_f32_e64 s17, 0x42b17218, v57
	v_exp_f32_e32 v25, v25
	v_fma_f32 v105, 0x3fb8aa3b, v60, -v75
	v_rndne_f32_e32 v106, v75
	v_ldexp_f32 v24, v24, v71
	v_sub_f32_e32 v57, v66, v96
	v_cmp_ngt_f32_e64 s10, 0xc2ce8ed0, v60
	v_cmp_nlt_f32_e64 s22, 0x42b17218, v60
	v_exp_f32_e32 v58, v58
	v_cndmask_b32_e64 v24, 0, v24, s6
	v_cvt_i32_f32_e32 v63, v90
	v_ldexp_f32 v25, v25, v72
	v_cvt_i32_f32_e32 v66, v96
	v_fma_f32 v107, 0x3fb8aa3b, v55, -v84
	v_cndmask_b32_e64 v24, 0x7f800000, v24, s18
	v_rndne_f32_e32 v108, v84
	s_wait_alu 0xf1ff
	v_cndmask_b32_e64 v25, 0, v25, s7
	v_cmp_ngt_f32_e64 s11, 0xc2ce8ed0, v55
	v_ldexp_f32 v58, v58, v63
	v_cmp_nlt_f32_e64 s23, 0x42b17218, v55
	v_rndne_f32_e32 v104, v74
	v_cndmask_b32_e64 v25, 0x7f800000, v25, s19
	v_dual_fmac_f32 v105, 0x32a5705f, v60 :: v_dual_sub_f32 v60, v75, v106
	v_add_f32_e32 v57, v57, v95
	v_cndmask_b32_e64 v58, 0, v58, s2
	v_cndmask_b32_e64 v20, 0, v20, s12
	s_wait_alu 0xfffd
	v_cndmask_b32_e32 v21, 0, v21, vcc_lo
	v_cmp_ngt_f32_e64 s9, 0xc2ce8ed0, v59
	v_exp_f32_e32 v57, v57
	v_cndmask_b32_e64 v58, 0x7f800000, v58, s14
	v_cmp_nlt_f32_e64 s21, 0x42b17218, v59
	v_sub_f32_e32 v59, v74, v104
	v_cndmask_b32_e64 v20, 0x7f800000, v20, s24
	v_cndmask_b32_e64 v21, 0x7f800000, v21, s13
	v_cvt_f16_f32_e32 v73, v58
	v_cvt_i32_f32_e32 v74, v104
	v_cvt_i32_f32_e32 v75, v106
	v_cvt_f16_f32_e32 v64, v24
	v_ldexp_f32 v57, v57, v66
	v_and_b32_e32 v100, 0xffff, v73
	v_add_f32_e32 v23, v20, v21
	v_cvt_f16_f32_e32 v63, v21
	v_cvt_f16_f32_e32 v66, v25
	v_cndmask_b32_e64 v57, 0, v57, s5
	v_cvt_f16_f32_e32 v72, v61
	v_fmac_f32_e32 v23, v68, v58
	s_delay_alu instid0(VALU_DEP_3) | instskip(SKIP_3) | instid1(VALU_DEP_2)
	v_cndmask_b32_e64 v57, 0x7f800000, v57, s17
	v_fmac_f32_e32 v107, 0x32a5705f, v55
	v_sub_f32_e32 v55, v84, v108
	v_cvt_i32_f32_e32 v84, v108
	v_dual_fmac_f32 v22, v69, v57 :: v_dual_add_f32 v55, v55, v107
	s_delay_alu instid0(VALU_DEP_1) | instskip(NEXT) | instid1(TRANS32_DEP_1)
	v_exp_f32_e32 v55, v55
	v_ldexp_f32 v55, v55, v84
	v_cvt_f16_f32_e32 v84, v62
	s_wait_alu 0xf1ff
	s_delay_alu instid0(VALU_DEP_2) | instskip(NEXT) | instid1(VALU_DEP_1)
	v_cndmask_b32_e64 v55, 0, v55, s11
	v_cndmask_b32_e64 v104, 0x7f800000, v55, s23
	v_cvt_f16_f32_e32 v55, v20
	v_add_f32_e32 v20, v24, v25
	v_dual_add_f32 v60, v60, v105 :: v_dual_add_f32 v59, v59, v103
	v_and_b32_e32 v103, 0xffff, v84
	s_delay_alu instid0(VALU_DEP_4) | instskip(SKIP_1) | instid1(VALU_DEP_4)
	v_pack_b32_f16 v24, v55, v56
	v_pack_b32_f16 v55, v63, v72
	v_exp_f32_e32 v60, v60
	v_exp_f32_e32 v59, v59
	v_fmac_f32_e32 v20, v70, v62
	v_mul_u32_u24_e32 v106, 0x10001, v103
	s_delay_alu instid0(VALU_DEP_1) | instskip(NEXT) | instid1(TRANS32_DEP_2)
	v_pk_mul_f16 v50, v50, v106
	v_ldexp_f32 v60, v60, v75
	s_delay_alu instid0(TRANS32_DEP_1) | instskip(SKIP_2) | instid1(VALU_DEP_4)
	v_ldexp_f32 v59, v59, v74
	v_cvt_f16_f32_e32 v74, v104
	v_cvt_f16_f32_e32 v75, v57
	v_cndmask_b32_e64 v60, 0, v60, s10
	s_delay_alu instid0(VALU_DEP_4) | instskip(NEXT) | instid1(VALU_DEP_4)
	v_cndmask_b32_e64 v59, 0, v59, s9
	v_and_b32_e32 v101, 0xffff, v74
	s_delay_alu instid0(VALU_DEP_4) | instskip(NEXT) | instid1(VALU_DEP_4)
	v_and_b32_e32 v102, 0xffff, v75
	v_cndmask_b32_e64 v60, 0x7f800000, v60, s22
	s_delay_alu instid0(VALU_DEP_4) | instskip(NEXT) | instid1(VALU_DEP_3)
	v_cndmask_b32_e64 v59, 0x7f800000, v59, s21
	v_mul_u32_u24_e32 v105, 0x10001, v102
	s_delay_alu instid0(VALU_DEP_3) | instskip(NEXT) | instid1(VALU_DEP_3)
	v_cvt_f16_f32_e32 v71, v60
	v_cvt_f16_f32_e32 v65, v59
	v_add_f32_e32 v21, v59, v60
	s_delay_alu instid0(VALU_DEP_3) | instskip(NEXT) | instid1(VALU_DEP_3)
	v_pack_b32_f16 v56, v66, v71
	v_pack_b32_f16 v25, v64, v65
	ds_store_2addr_b64 v41, v[24:25], v[55:56] offset1:32
	s_wait_loadcnt 0x1
	ds_store_b128 v38, v[76:79]
	s_wait_loadcnt 0x0
	ds_store_b128 v39, v[80:83]
	s_wait_dscnt 0x0
	s_barrier_signal -1
	s_barrier_wait -1
	global_inv scope:SCOPE_SE
	ds_load_b128 v[55:58], v37
	ds_load_b128 v[59:62], v37 offset:16
	ds_load_b128 v[63:66], v37 offset:32
	;; [unrolled: 1-line block ×9, first 2 shown]
	ds_load_2addr_b64 v[96:99], v43 offset1:32
	v_mul_u32_u24_e32 v25, 0x10001, v101
	v_mul_u32_u24_e32 v24, 0x10001, v100
	ds_load_2addr_b64 v[100:103], v43 offset0:64 offset1:96
	v_pk_mul_f16 v49, v49, v25
	v_pk_mul_f16 v25, v47, v25
	;; [unrolled: 1-line block ×3, first 2 shown]
	s_wait_dscnt 0xb
	v_lshrrev_b32_e32 v109, 16, v58
	s_wait_dscnt 0xa
	v_lshrrev_b32_e32 v113, 16, v60
	s_wait_dscnt 0x9
	v_dual_fmac_f32 v21, v67, v104 :: v_dual_and_b32 v122, 0xffff, v63
	s_wait_dscnt 0x7
	v_and_b32_e32 v142, 0xffff, v74
	v_lshrrev_b32_e32 v67, 16, v56
	v_and_b32_e32 v104, 0xffff, v55
	v_and_b32_e32 v115, 0xffff, v60
	v_lshrrev_b32_e32 v47, 16, v55
	v_and_b32_e32 v107, 0xffff, v56
	v_mul_u32_u24_e32 v60, 0x10001, v67
	v_and_b32_e32 v110, 0xffff, v57
	v_lshrrev_b32_e32 v112, 16, v59
	v_and_b32_e32 v114, 0xffff, v59
	v_lshrrev_b32_e32 v120, 16, v63
	v_pk_mul_f16 v59, v52, v105
	v_mul_u32_u24_e32 v52, 0x10001, v104
	s_wait_dscnt 0x1
	v_pk_fma_f16 v49, v96, v60, v49
	v_pk_fma_f16 v25, v97, v60, v25
	v_mul_u32_u24_e32 v63, 0x10001, v109
	v_lshrrev_b32_e32 v108, 16, v57
	v_lshrrev_b32_e32 v116, 16, v61
	v_lshrrev_b32_e32 v117, 16, v62
	v_and_b32_e32 v118, 0xffff, v61
	v_and_b32_e32 v119, 0xffff, v62
	v_lshrrev_b32_e32 v124, 16, v65
	v_and_b32_e32 v126, 0xffff, v65
	v_mul_u32_u24_e32 v47, 0x10001, v47
	v_pk_fma_f16 v61, v97, v52, v54
	v_pk_mul_f16 v52, v96, v52
	v_mul_u32_u24_e32 v62, 0x10001, v107
	v_pk_fma_f16 v65, v98, v63, v49
	v_pk_fma_f16 v25, v99, v63, v25
	v_mul_u32_u24_e32 v63, 0x10001, v110
	v_and_b32_e32 v111, 0xffff, v58
	v_lshrrev_b32_e32 v125, 16, v66
	v_and_b32_e32 v127, 0xffff, v66
	v_pk_mul_f16 v54, v96, v47
	v_pk_fma_f16 v24, v53, v24, v52
	v_pk_fma_f16 v59, v97, v47, v59
	v_pk_mul_f16 v47, v96, v62
	v_pk_fma_f16 v66, v99, v63, v61
	v_mul_u32_u24_e32 v61, 0x10001, v108
	v_lshrrev_b32_e32 v121, 16, v64
	v_and_b32_e32 v123, 0xffff, v64
	v_pk_fma_f16 v62, v97, v62, v50
	v_pk_fma_f16 v64, v48, v106, v47
	;; [unrolled: 1-line block ×4, first 2 shown]
	v_mul_u32_u24_e32 v59, 0x10001, v111
	v_lshrrev_b32_e32 v128, 16, v68
	v_lshrrev_b32_e32 v129, 16, v69
	v_and_b32_e32 v130, 0xffff, v68
	v_and_b32_e32 v131, 0xffff, v69
	v_lshrrev_b32_e32 v133, 16, v71
	v_and_b32_e32 v135, 0xffff, v71
	v_pk_fma_f16 v60, v51, v105, v54
	v_pk_fma_f16 v68, v99, v59, v62
	v_pk_fma_f16 v64, v98, v59, v64
	v_mul_u32_u24_e32 v59, 0x10001, v113
	v_mul_u32_u24_e32 v69, 0x10001, v114
	;; [unrolled: 1-line block ×3, first 2 shown]
	v_lshrrev_b32_e32 v132, 16, v70
	v_and_b32_e32 v134, 0xffff, v70
	v_lshrrev_b32_e32 v136, 16, v72
	v_lshrrev_b32_e32 v137, 16, v73
	v_and_b32_e32 v138, 0xffff, v72
	v_and_b32_e32 v139, 0xffff, v73
	ds_load_2addr_b64 v[47:50], v43 offset0:128 offset1:160
	v_pk_fma_f16 v67, v98, v61, v60
	s_wait_dscnt 0x1
	v_pk_fma_f16 v65, v100, v59, v65
	v_pk_fma_f16 v25, v101, v59, v25
	v_mul_u32_u24_e32 v70, 0x10001, v112
	v_mul_u32_u24_e32 v72, 0x10001, v117
	v_pk_fma_f16 v73, v101, v69, v66
	v_pk_fma_f16 v68, v101, v71, v68
	;; [unrolled: 1-line block ×4, first 2 shown]
	v_mul_u32_u24_e32 v71, 0x10001, v118
	v_lshrrev_b32_e32 v140, 16, v74
	v_pk_fma_f16 v74, v101, v70, v63
	v_pk_fma_f16 v67, v100, v70, v67
	;; [unrolled: 1-line block ×6, first 2 shown]
	v_mul_u32_u24_e32 v71, 0x10001, v116
	v_lshrrev_b32_e32 v141, 16, v75
	v_and_b32_e32 v143, 0xffff, v75
	v_lshrrev_b32_e32 v144, 16, v76
	v_lshrrev_b32_e32 v145, 16, v77
	v_pk_fma_f16 v73, v103, v71, v74
	v_pk_fma_f16 v71, v102, v71, v67
	v_mul_u32_u24_e32 v67, 0x10001, v119
	v_and_b32_e32 v146, 0xffff, v76
	v_and_b32_e32 v147, 0xffff, v77
	v_lshrrev_b32_e32 v148, 16, v78
	v_and_b32_e32 v150, 0xffff, v78
	v_pk_fma_f16 v74, v103, v67, v68
	v_pk_fma_f16 v75, v102, v67, v69
	v_mul_u32_u24_e32 v67, 0x10001, v121
	v_mul_u32_u24_e32 v77, 0x10001, v122
	;; [unrolled: 1-line block ×5, first 2 shown]
	s_wait_dscnt 0x0
	v_pk_fma_f16 v76, v47, v67, v70
	ds_load_2addr_b64 v[59:62], v43 offset0:192 offset1:224
	v_pk_fma_f16 v106, v48, v77, v72
	v_pk_fma_f16 v24, v47, v77, v24
	;; [unrolled: 1-line block ×5, first 2 shown]
	v_mul_u32_u24_e32 v76, 0x10001, v126
	v_pk_fma_f16 v25, v48, v67, v25
	v_pk_fma_f16 v107, v48, v78, v73
	ds_load_b128 v[55:58], v37 offset:160
	ds_load_b128 v[51:54], v37 offset:176
	v_pk_fma_f16 v78, v50, v76, v106
	v_pk_fma_f16 v24, v49, v76, v24
	v_mul_u32_u24_e32 v76, 0x10001, v124
	v_pk_fma_f16 v48, v48, v104, v74
	v_pk_fma_f16 v25, v50, v105, v25
	ds_load_2addr_b64 v[71:74], v44 offset1:32
	v_mul_u32_u24_e32 v110, 0x10001, v130
	v_pk_fma_f16 v105, v50, v76, v107
	v_pk_fma_f16 v76, v49, v76, v77
	v_mul_u32_u24_e32 v77, 0x10001, v127
	v_mul_u32_u24_e32 v111, 0x10001, v128
	;; [unrolled: 1-line block ×3, first 2 shown]
	s_wait_dscnt 0x3
	v_pk_fma_f16 v114, v60, v110, v78
	v_mul_u32_u24_e32 v113, 0x10001, v133
	v_pk_fma_f16 v107, v50, v77, v48
	v_pk_fma_f16 v77, v49, v77, v47
	v_mul_u32_u24_e32 v47, 0x10001, v129
	v_pk_fma_f16 v105, v60, v111, v105
	v_pk_fma_f16 v24, v59, v110, v24
	v_mul_u32_u24_e32 v120, 0x10001, v139
	ds_load_b128 v[63:66], v37 offset:192
	ds_load_b128 v[67:70], v37 offset:208
	v_pk_fma_f16 v25, v60, v47, v25
	v_pk_fma_f16 v60, v60, v112, v107
	;; [unrolled: 1-line block ×3, first 2 shown]
	v_mul_u32_u24_e32 v111, 0x10001, v134
	v_pk_fma_f16 v75, v59, v47, v75
	v_pk_fma_f16 v59, v59, v112, v77
	ds_load_2addr_b64 v[47:50], v44 offset0:64 offset1:96
	v_pk_fma_f16 v25, v62, v113, v25
	v_pk_fma_f16 v112, v62, v111, v114
	v_mul_u32_u24_e32 v114, 0x10001, v135
	v_pk_fma_f16 v110, v61, v113, v75
	v_pk_fma_f16 v24, v61, v111, v24
	s_wait_dscnt 0x5
	v_lshrrev_b32_e32 v111, 16, v55
	v_mul_u32_u24_e32 v113, 0x10001, v132
	v_pk_fma_f16 v60, v62, v114, v60
	v_pk_fma_f16 v59, v61, v114, v59
	v_and_b32_e32 v114, 0xffff, v55
	v_mul_u32_u24_e32 v55, 0x10001, v137
	v_pk_fma_f16 v105, v62, v113, v105
	v_pk_fma_f16 v107, v61, v113, v107
	v_mul_u32_u24_e32 v62, 0x10001, v138
	v_mul_u32_u24_e32 v121, 0x10001, v141
	s_wait_dscnt 0x3
	v_pk_fma_f16 v61, v71, v55, v110
	v_mul_u32_u24_e32 v110, 0x10001, v136
	v_pk_fma_f16 v25, v72, v55, v25
	v_pk_fma_f16 v112, v72, v62, v112
	v_pk_fma_f16 v24, v71, v62, v24
	v_mul_u32_u24_e32 v122, 0x10001, v143
	v_pk_fma_f16 v105, v72, v110, v105
	v_pk_fma_f16 v72, v72, v120, v60
	;; [unrolled: 1-line block ×4, first 2 shown]
	v_mul_u32_u24_e32 v120, 0x10001, v142
	v_lshrrev_b32_e32 v149, 16, v79
	v_pk_fma_f16 v110, v73, v121, v61
	v_pk_fma_f16 v25, v74, v121, v25
	ds_load_2addr_b64 v[59:62], v44 offset0:128 offset1:160
	v_pk_fma_f16 v112, v74, v120, v112
	v_pk_fma_f16 v24, v73, v120, v24
	v_lshrrev_b32_e32 v120, 16, v51
	v_mul_u32_u24_e32 v121, 0x10001, v140
	v_pk_fma_f16 v72, v74, v122, v72
	v_pk_fma_f16 v71, v73, v122, v71
	v_and_b32_e32 v122, 0xffff, v51
	v_mul_u32_u24_e32 v51, 0x10001, v145
	v_and_b32_e32 v79, 0xffff, v79
	v_pk_fma_f16 v105, v74, v121, v105
	v_pk_fma_f16 v107, v73, v121, v107
	v_mul_u32_u24_e32 v74, 0x10001, v146
	s_wait_dscnt 0x1
	v_pk_fma_f16 v73, v47, v51, v110
	v_pk_fma_f16 v25, v48, v51, v25
	v_mul_u32_u24_e32 v110, 0x10001, v144
	v_mul_u32_u24_e32 v128, 0x10001, v147
	v_mul_u32_u24_e32 v129, 0x10001, v149
	v_lshrrev_b32_e32 v151, 16, v80
	v_lshrrev_b32_e32 v152, 16, v81
	v_and_b32_e32 v80, 0xffff, v80
	v_and_b32_e32 v81, 0xffff, v81
	v_lshrrev_b32_e32 v121, 16, v52
	v_and_b32_e32 v123, 0xffff, v52
	v_lshrrev_b32_e32 v124, 16, v53
	v_lshrrev_b32_e32 v125, 16, v54
	v_and_b32_e32 v126, 0xffff, v53
	v_and_b32_e32 v127, 0xffff, v54
	ds_load_2addr_b64 v[51:54], v44 offset0:192 offset1:224
	v_pk_fma_f16 v112, v48, v74, v112
	v_pk_fma_f16 v105, v48, v110, v105
	;; [unrolled: 1-line block ×8, first 2 shown]
	v_mul_u32_u24_e32 v128, 0x10001, v150
	v_mul_u32_u24_e32 v129, 0x10001, v148
	;; [unrolled: 1-line block ×3, first 2 shown]
	v_lshrrev_b32_e32 v154, 16, v83
	v_and_b32_e32 v83, 0xffff, v83
	v_pk_fma_f16 v112, v50, v128, v112
	v_pk_fma_f16 v24, v49, v128, v24
	;; [unrolled: 1-line block ×4, first 2 shown]
	v_lshrrev_b32_e32 v129, 16, v64
	v_pk_fma_f16 v130, v50, v79, v48
	v_pk_fma_f16 v79, v49, v79, v47
	v_and_b32_e32 v132, 0xffff, v64
	v_lshrrev_b32_e32 v133, 16, v65
	v_lshrrev_b32_e32 v134, 16, v66
	v_and_b32_e32 v135, 0xffff, v65
	v_and_b32_e32 v136, 0xffff, v66
	v_mul_u32_u24_e32 v47, 0x10001, v152
	v_mul_u32_u24_e32 v64, 0x10001, v80
	;; [unrolled: 1-line block ×4, first 2 shown]
	v_lshrrev_b32_e32 v153, 16, v82
	v_and_b32_e32 v82, 0xffff, v82
	v_lshrrev_b32_e32 v97, 16, v85
	v_lshrrev_b32_e32 v128, 16, v63
	v_and_b32_e32 v131, 0xffff, v63
	s_wait_dscnt 0x1
	v_pk_fma_f16 v63, v59, v47, v110
	v_pk_fma_f16 v25, v60, v47, v25
	v_mul_u32_u24_e32 v80, 0x10001, v154
	v_pk_fma_f16 v81, v60, v64, v112
	v_pk_fma_f16 v105, v60, v65, v105
	;; [unrolled: 1-line block ×6, first 2 shown]
	v_mul_u32_u24_e32 v83, 0x10001, v83
	v_lshrrev_b32_e32 v96, 16, v84
	v_and_b32_e32 v84, 0xffff, v84
	v_and_b32_e32 v85, 0xffff, v85
	v_lshrrev_b32_e32 v99, 16, v87
	ds_load_b128 v[75:78], v37 offset:224
	ds_load_2addr_b64 v[71:74], v45 offset1:32
	v_pk_fma_f16 v79, v61, v80, v63
	v_pk_fma_f16 v25, v62, v80, v25
	v_mul_u32_u24_e32 v80, 0x10001, v82
	v_mul_u32_u24_e32 v82, 0x10001, v153
	v_pk_fma_f16 v110, v62, v83, v60
	v_pk_fma_f16 v83, v61, v83, v59
	v_mul_u32_u24_e32 v59, 0x10001, v97
	v_lshrrev_b32_e32 v98, 16, v86
	v_and_b32_e32 v86, 0xffff, v86
	v_and_b32_e32 v87, 0xffff, v87
	v_pk_fma_f16 v81, v62, v80, v81
	v_pk_fma_f16 v24, v61, v80, v24
	v_lshrrev_b32_e32 v80, 16, v67
	v_pk_fma_f16 v105, v62, v82, v105
	v_pk_fma_f16 v82, v61, v82, v107
	v_lshrrev_b32_e32 v107, 16, v68
	v_and_b32_e32 v112, 0xffff, v67
	v_and_b32_e32 v130, 0xffff, v68
	v_lshrrev_b32_e32 v137, 16, v69
	v_lshrrev_b32_e32 v138, 16, v70
	v_and_b32_e32 v139, 0xffff, v69
	v_and_b32_e32 v140, 0xffff, v70
	s_wait_dscnt 0x2
	v_pk_fma_f16 v67, v51, v59, v79
	v_pk_fma_f16 v25, v52, v59, v25
	v_mul_u32_u24_e32 v68, 0x10001, v84
	v_mul_u32_u24_e32 v69, 0x10001, v96
	;; [unrolled: 1-line block ×4, first 2 shown]
	v_lshrrev_b32_e32 v101, 16, v89
	v_lshrrev_b32_e32 v113, 16, v56
	v_and_b32_e32 v115, 0xffff, v56
	v_lshrrev_b32_e32 v116, 16, v57
	v_lshrrev_b32_e32 v117, 16, v58
	v_and_b32_e32 v118, 0xffff, v57
	v_and_b32_e32 v119, 0xffff, v58
	ds_load_b128 v[55:58], v37 offset:240
	v_pk_fma_f16 v81, v52, v68, v81
	v_pk_fma_f16 v84, v52, v69, v105
	v_pk_fma_f16 v52, v52, v70, v110
	v_pk_fma_f16 v24, v51, v68, v24
	v_pk_fma_f16 v82, v51, v69, v82
	v_pk_fma_f16 v51, v51, v70, v83
	v_pk_fma_f16 v83, v53, v79, v67
	v_pk_fma_f16 v25, v54, v79, v25
	v_mul_u32_u24_e32 v79, 0x10001, v86
	v_mul_u32_u24_e32 v86, 0x10001, v87
	v_lshrrev_b32_e32 v100, 16, v88
	v_and_b32_e32 v88, 0xffff, v88
	v_and_b32_e32 v89, 0xffff, v89
	v_lshrrev_b32_e32 v103, 16, v91
	ds_load_2addr_b64 v[47:50], v45 offset0:64 offset1:96
	v_mul_u32_u24_e32 v85, 0x10001, v98
	v_pk_fma_f16 v87, v54, v86, v52
	v_pk_fma_f16 v86, v53, v86, v51
	v_mul_u32_u24_e32 v51, 0x10001, v101
	v_lshrrev_b32_e32 v102, 16, v90
	v_and_b32_e32 v90, 0xffff, v90
	v_and_b32_e32 v91, 0xffff, v91
	v_pk_fma_f16 v81, v54, v79, v81
	v_pk_fma_f16 v24, v53, v79, v24
	s_wait_dscnt 0x3
	v_lshrrev_b32_e32 v79, 16, v75
	v_pk_fma_f16 v84, v54, v85, v84
	v_pk_fma_f16 v82, v53, v85, v82
	v_lshrrev_b32_e32 v85, 16, v76
	v_and_b32_e32 v96, 0xffff, v75
	v_and_b32_e32 v97, 0xffff, v76
	v_lshrrev_b32_e32 v98, 16, v77
	v_lshrrev_b32_e32 v99, 16, v78
	v_and_b32_e32 v105, 0xffff, v77
	v_and_b32_e32 v110, 0xffff, v78
	s_wait_dscnt 0x2
	v_pk_fma_f16 v75, v71, v51, v83
	v_pk_fma_f16 v25, v72, v51, v25
	v_mul_u32_u24_e32 v76, 0x10001, v88
	v_mul_u32_u24_e32 v77, 0x10001, v100
	;; [unrolled: 1-line block ×4, first 2 shown]
	v_lshrrev_b32_e32 v104, 16, v92
	v_lshrrev_b32_e32 v106, 16, v93
	v_and_b32_e32 v92, 0xffff, v92
	v_pk_fma_f16 v81, v72, v76, v81
	v_pk_fma_f16 v84, v72, v77, v84
	;; [unrolled: 1-line block ×8, first 2 shown]
	v_mul_u32_u24_e32 v83, 0x10001, v90
	v_mul_u32_u24_e32 v87, 0x10001, v102
	;; [unrolled: 1-line block ×3, first 2 shown]
	v_and_b32_e32 v93, 0xffff, v93
	v_lshrrev_b32_e32 v109, 16, v95
	v_pk_fma_f16 v81, v74, v83, v81
	v_pk_fma_f16 v24, v73, v83, v24
	s_wait_dscnt 0x1
	v_lshrrev_b32_e32 v83, 16, v55
	v_pk_fma_f16 v84, v74, v87, v84
	v_pk_fma_f16 v82, v73, v87, v82
	;; [unrolled: 1-line block ×4, first 2 shown]
	v_and_b32_e32 v90, 0xffff, v55
	v_mul_u32_u24_e32 v55, 0x10001, v106
	v_mul_u32_u24_e32 v71, 0x10001, v92
	;; [unrolled: 1-line block ×3, first 2 shown]
	ds_load_2addr_b64 v[63:66], v45 offset0:128 offset1:160
	ds_load_2addr_b64 v[59:62], v45 offset0:192 offset1:224
	ds_load_2addr_b64 v[67:70], v46 offset1:32
	ds_load_2addr_b64 v[51:54], v46 offset0:64 offset1:96
	ds_load_2addr_b64 v[75:78], v46 offset0:128 offset1:160
	v_lshrrev_b32_e32 v87, 16, v56
	v_and_b32_e32 v91, 0xffff, v56
	v_lshrrev_b32_e32 v100, 16, v57
	v_lshrrev_b32_e32 v101, 16, v58
	v_and_b32_e32 v102, 0xffff, v57
	v_and_b32_e32 v103, 0xffff, v58
	s_wait_dscnt 0x5
	v_pk_fma_f16 v86, v47, v55, v86
	v_pk_fma_f16 v25, v48, v55, v25
	ds_load_2addr_b64 v[55:58], v46 offset0:192 offset1:224
	s_wait_loadcnt_dscnt 0x0
	s_barrier_signal -1
	s_barrier_wait -1
	global_inv scope:SCOPE_SE
	v_pk_fma_f16 v81, v48, v71, v81
	v_pk_fma_f16 v84, v48, v72, v84
	;; [unrolled: 1-line block ×4, first 2 shown]
	global_load_b128 v[71:74], v[18:19], off
	v_mul_u32_u24_e32 v18, 0x10001, v93
	v_mul_u32_u24_e32 v19, 0x10001, v109
	v_lshrrev_b32_e32 v108, 16, v94
	v_and_b32_e32 v94, 0xffff, v94
	v_and_b32_e32 v95, 0xffff, v95
	v_pk_fma_f16 v48, v48, v18, v89
	v_pk_fma_f16 v47, v47, v18, v88
	;; [unrolled: 1-line block ×4, first 2 shown]
	global_load_b128 v[16:19], v[16:17], off
	v_mul_u32_u24_e32 v88, 0x10001, v94
	v_mul_u32_u24_e32 v89, 0x10001, v108
	;; [unrolled: 1-line block ×7, first 2 shown]
	v_pk_fma_f16 v81, v50, v88, v81
	v_pk_fma_f16 v84, v50, v89, v84
	v_pk_fma_f16 v48, v50, v92, v48
	v_pk_fma_f16 v24, v49, v88, v24
	v_pk_fma_f16 v50, v49, v89, v82
	v_pk_fma_f16 v47, v49, v92, v47
	v_mul_u32_u24_e32 v106, 0x10001, v118
	v_mul_u32_u24_e32 v108, 0x10001, v116
	v_mul_u32_u24_e32 v109, 0x10001, v119
	v_mul_u32_u24_e32 v111, 0x10001, v117
	v_pk_fma_f16 v49, v63, v104, v86
	v_pk_fma_f16 v81, v64, v93, v81
	v_pk_fma_f16 v82, v64, v94, v84
	v_pk_fma_f16 v48, v64, v95, v48
	v_pk_fma_f16 v25, v64, v104, v25
	v_pk_fma_f16 v24, v63, v93, v24
	v_pk_fma_f16 v50, v63, v94, v50
	v_pk_fma_f16 v47, v63, v95, v47
	v_mul_u32_u24_e32 v113, 0x10001, v122
	v_mul_u32_u24_e32 v114, 0x10001, v120
	v_mul_u32_u24_e32 v115, 0x10001, v123
	v_mul_u32_u24_e32 v116, 0x10001, v121
	v_pk_fma_f16 v49, v65, v111, v49
	v_pk_fma_f16 v63, v66, v106, v81
	;; [unrolled: 12-line block ×11, first 2 shown]
	v_pk_fma_f16 v52, v56, v83, v52
	v_pk_fma_f16 v48, v56, v91, v48
	v_pk_fma_f16 v25, v56, v87, v25
	v_pk_fma_f16 v24, v55, v90, v24
	v_pk_fma_f16 v50, v55, v83, v50
	v_pk_fma_f16 v47, v55, v91, v47
	v_pk_fma_f16 v99, v57, v101, v49
	v_pk_fma_f16 v104, v58, v102, v51
	v_pk_fma_f16 v105, v58, v100, v52
	v_pk_fma_f16 v106, v58, v103, v48
	v_pk_fma_f16 v25, v58, v101, v25
	v_pk_fma_f16 v24, v57, v102, v24
	v_pk_fma_f16 v100, v57, v100, v50
	v_pk_fma_f16 v101, v57, v103, v47
	s_wait_loadcnt 0x1
	ds_store_b128 v38, v[71:74]
	s_wait_loadcnt 0x0
	ds_store_b128 v39, v[16:19]
	s_wait_dscnt 0x0
	s_barrier_signal -1
	s_barrier_wait -1
	global_inv scope:SCOPE_SE
	ds_load_b128 v[16:19], v37 offset:256
	ds_load_b128 v[47:50], v37 offset:272
	;; [unrolled: 1-line block ×10, first 2 shown]
	ds_load_2addr_b64 v[83:86], v43 offset1:32
	ds_load_b128 v[87:90], v37 offset:416
	ds_load_b128 v[91:94], v37 offset:432
	ds_load_2addr_b64 v[95:98], v43 offset0:64 offset1:96
	s_wait_dscnt 0xd
	v_lshrrev_b32_e32 v102, 16, v16
	v_and_b32_e32 v107, 0xffff, v17
	v_lshrrev_b32_e32 v108, 16, v18
	s_wait_dscnt 0xc
	v_lshrrev_b32_e32 v113, 16, v48
	v_and_b32_e32 v115, 0xffff, v48
	v_mul_u32_u24_e32 v48, 0x10001, v102
	v_lshrrev_b32_e32 v103, 16, v17
	v_and_b32_e32 v16, 0xffff, v16
	v_and_b32_e32 v111, 0xffff, v19
	v_lshrrev_b32_e32 v116, 16, v49
	v_and_b32_e32 v118, 0xffff, v49
	s_wait_dscnt 0xb
	v_lshrrev_b32_e32 v121, 16, v52
	v_and_b32_e32 v123, 0xffff, v52
	s_wait_dscnt 0xa
	v_lshrrev_b32_e32 v132, 16, v57
	v_and_b32_e32 v134, 0xffff, v57
	v_mul_u32_u24_e32 v49, 0x10001, v107
	s_wait_dscnt 0x3
	v_pk_fma_f16 v52, v83, v48, v100
	v_mul_u32_u24_e32 v57, 0x10001, v108
	v_lshrrev_b32_e32 v109, 16, v19
	v_and_b32_e32 v110, 0xffff, v18
	v_lshrrev_b32_e32 v117, 16, v50
	v_and_b32_e32 v119, 0xffff, v50
	;; [unrolled: 2-line block ×5, first 2 shown]
	v_mul_u32_u24_e32 v16, 0x10001, v16
	v_mul_u32_u24_e32 v50, 0x10001, v103
	v_pk_fma_f16 v54, v83, v49, v101
	v_pk_fma_f16 v56, v84, v49, v106
	;; [unrolled: 1-line block ×3, first 2 shown]
	v_mul_u32_u24_e32 v52, 0x10001, v111
	v_lshrrev_b32_e32 v112, 16, v47
	v_and_b32_e32 v114, 0xffff, v47
	v_lshrrev_b32_e32 v120, 16, v51
	v_and_b32_e32 v122, 0xffff, v51
	;; [unrolled: 2-line block ×5, first 2 shown]
	v_pk_fma_f16 v24, v83, v16, v24
	v_pk_fma_f16 v47, v84, v16, v104
	v_mul_u32_u24_e32 v51, 0x10001, v110
	v_pk_fma_f16 v53, v84, v48, v105
	v_pk_fma_f16 v55, v83, v50, v99
	;; [unrolled: 1-line block ×5, first 2 shown]
	v_mul_u32_u24_e32 v52, 0x10001, v109
	v_lshrrev_b32_e32 v140, 16, v61
	v_and_b32_e32 v142, 0xffff, v61
	v_lshrrev_b32_e32 v144, 16, v63
	v_and_b32_e32 v146, 0xffff, v63
	v_pk_fma_f16 v24, v85, v51, v24
	v_pk_fma_f16 v51, v86, v51, v47
	v_pk_fma_f16 v57, v86, v57, v53
	v_pk_fma_f16 v55, v85, v52, v55
	v_pk_fma_f16 v25, v86, v52, v25
	v_mul_u32_u24_e32 v52, 0x10001, v114
	v_mul_u32_u24_e32 v61, 0x10001, v112
	;; [unrolled: 1-line block ×3, first 2 shown]
	v_lshrrev_b32_e32 v137, 16, v60
	v_and_b32_e32 v139, 0xffff, v60
	v_lshrrev_b32_e32 v141, 16, v62
	v_and_b32_e32 v143, 0xffff, v62
	;; [unrolled: 2-line block ×3, first 2 shown]
	v_lshrrev_b32_e32 v148, 16, v65
	v_lshrrev_b32_e32 v149, 16, v66
	v_and_b32_e32 v150, 0xffff, v65
	v_and_b32_e32 v151, 0xffff, v66
	ds_load_2addr_b64 v[16:19], v43 offset0:128 offset1:160
	s_wait_dscnt 0x1
	v_pk_fma_f16 v24, v95, v52, v24
	v_pk_fma_f16 v60, v96, v52, v51
	v_mul_u32_u24_e32 v62, 0x10001, v115
	v_mul_u32_u24_e32 v64, 0x10001, v118
	v_pk_fma_f16 v65, v95, v61, v58
	v_pk_fma_f16 v61, v96, v61, v57
	;; [unrolled: 1-line block ×4, first 2 shown]
	v_mul_u32_u24_e32 v63, 0x10001, v116
	v_pk_fma_f16 v59, v95, v62, v59
	v_pk_fma_f16 v24, v97, v64, v24
	;; [unrolled: 1-line block ×6, first 2 shown]
	v_mul_u32_u24_e32 v61, 0x10001, v119
	v_lshrrev_b32_e32 v152, 16, v67
	v_lshrrev_b32_e32 v153, 16, v68
	v_and_b32_e32 v154, 0xffff, v67
	v_and_b32_e32 v155, 0xffff, v68
	v_pk_fma_f16 v65, v97, v61, v59
	v_mul_u32_u24_e32 v59, 0x10001, v117
	v_lshrrev_b32_e32 v156, 16, v69
	v_lshrrev_b32_e32 v157, 16, v70
	v_and_b32_e32 v158, 0xffff, v69
	v_and_b32_e32 v159, 0xffff, v70
	v_pk_fma_f16 v66, v97, v59, v66
	v_pk_fma_f16 v25, v98, v59, v25
	v_mul_u32_u24_e32 v59, 0x10001, v122
	v_lshrrev_b32_e32 v83, 16, v71
	v_lshrrev_b32_e32 v84, 16, v72
	v_and_b32_e32 v85, 0xffff, v71
	v_and_b32_e32 v86, 0xffff, v72
	v_pk_fma_f16 v67, v98, v61, v62
	s_wait_dscnt 0x0
	v_pk_fma_f16 v68, v17, v59, v60
	v_mul_u32_u24_e32 v69, 0x10001, v120
	v_mul_u32_u24_e32 v70, 0x10001, v123
	;; [unrolled: 1-line block ×4, first 2 shown]
	v_lshrrev_b32_e32 v99, 16, v73
	v_and_b32_e32 v101, 0xffff, v73
	ds_load_2addr_b64 v[55:58], v43 offset0:192 offset1:224
	v_pk_fma_f16 v73, v16, v69, v64
	v_pk_fma_f16 v69, v17, v69, v63
	;; [unrolled: 1-line block ×5, first 2 shown]
	v_mul_u32_u24_e32 v68, 0x10001, v124
	v_lshrrev_b32_e32 v100, 16, v74
	v_and_b32_e32 v102, 0xffff, v74
	v_pk_fma_f16 v74, v16, v70, v65
	v_pk_fma_f16 v24, v16, v59, v24
	;; [unrolled: 1-line block ×4, first 2 shown]
	v_mul_u32_u24_e32 v69, 0x10001, v127
	v_pk_fma_f16 v16, v16, v71, v66
	v_lshrrev_b32_e32 v95, 16, v75
	v_and_b32_e32 v97, 0xffff, v75
	v_pk_fma_f16 v24, v18, v72, v24
	v_pk_fma_f16 v71, v18, v69, v74
	;; [unrolled: 1-line block ×3, first 2 shown]
	v_mul_u32_u24_e32 v69, 0x10001, v125
	v_mul_u32_u24_e32 v73, 0x10001, v128
	;; [unrolled: 1-line block ×4, first 2 shown]
	v_lshrrev_b32_e32 v103, 16, v77
	v_pk_fma_f16 v72, v18, v69, v16
	v_mul_u32_u24_e32 v16, 0x10001, v130
	v_and_b32_e32 v105, 0xffff, v77
	v_pk_fma_f16 v69, v19, v69, v17
	s_wait_dscnt 0x0
	v_pk_fma_f16 v77, v55, v73, v70
	v_pk_fma_f16 v73, v56, v73, v68
	v_pk_fma_f16 v24, v55, v16, v24
	v_pk_fma_f16 v25, v56, v16, v25
	ds_load_2addr_b64 v[16:19], v44 offset1:32
	v_pk_fma_f16 v71, v55, v74, v71
	v_pk_fma_f16 v55, v55, v75, v72
	v_mul_u32_u24_e32 v72, 0x10001, v132
	v_pk_fma_f16 v74, v56, v74, v67
	v_pk_fma_f16 v56, v56, v75, v69
	v_lshrrev_b32_e32 v96, 16, v76
	v_and_b32_e32 v98, 0xffff, v76
	v_pk_fma_f16 v75, v57, v72, v77
	v_pk_fma_f16 v72, v58, v72, v73
	v_mul_u32_u24_e32 v73, 0x10001, v135
	v_mul_u32_u24_e32 v76, 0x10001, v134
	v_lshrrev_b32_e32 v104, 16, v78
	v_and_b32_e32 v106, 0xffff, v78
	v_mul_u32_u24_e32 v77, 0x10001, v136
	v_pk_fma_f16 v71, v57, v73, v71
	v_pk_fma_f16 v73, v58, v73, v74
	v_mul_u32_u24_e32 v74, 0x10001, v133
	v_pk_fma_f16 v24, v57, v76, v24
	v_pk_fma_f16 v25, v58, v76, v25
	v_mul_u32_u24_e32 v78, 0x10001, v139
	v_mul_u32_u24_e32 v115, 0x10001, v137
	v_pk_fma_f16 v76, v57, v74, v55
	v_mul_u32_u24_e32 v55, 0x10001, v138
	ds_load_2addr_b64 v[67:70], v44 offset0:64 offset1:96
	s_wait_dscnt 0x1
	v_pk_fma_f16 v75, v16, v77, v75
	v_pk_fma_f16 v77, v17, v77, v72
	;; [unrolled: 1-line block ×5, first 2 shown]
	v_mul_u32_u24_e32 v76, 0x10001, v140
	v_pk_fma_f16 v25, v17, v55, v25
	v_mul_u32_u24_e32 v116, 0x10001, v142
	v_pk_fma_f16 v78, v17, v78, v73
	ds_load_b128 v[47:50], v37 offset:448
	ds_load_b128 v[51:54], v37 offset:464
	v_pk_fma_f16 v75, v18, v76, v75
	v_pk_fma_f16 v76, v19, v76, v77
	v_mul_u32_u24_e32 v77, 0x10001, v143
	v_pk_fma_f16 v74, v58, v74, v56
	v_pk_fma_f16 v24, v18, v116, v24
	;; [unrolled: 1-line block ×3, first 2 shown]
	ds_load_2addr_b64 v[55:58], v44 offset0:128 offset1:160
	v_pk_fma_f16 v116, v18, v77, v117
	v_pk_fma_f16 v77, v19, v77, v78
	v_mul_u32_u24_e32 v78, 0x10001, v141
	v_pk_fma_f16 v17, v17, v115, v74
	v_mul_u32_u24_e32 v121, 0x10001, v144
	v_mul_u32_u24_e32 v122, 0x10001, v147
	;; [unrolled: 1-line block ×3, first 2 shown]
	v_pk_fma_f16 v118, v18, v78, v16
	v_mul_u32_u24_e32 v16, 0x10001, v146
	v_pk_fma_f16 v78, v19, v78, v17
	s_wait_dscnt 0x3
	v_pk_fma_f16 v125, v67, v121, v75
	v_pk_fma_f16 v116, v67, v122, v116
	v_mul_u32_u24_e32 v124, 0x10001, v150
	v_pk_fma_f16 v24, v67, v16, v24
	v_pk_fma_f16 v67, v67, v123, v118
	;; [unrolled: 1-line block ×3, first 2 shown]
	v_mul_u32_u24_e32 v122, 0x10001, v148
	v_pk_fma_f16 v25, v68, v16, v25
	v_pk_fma_f16 v121, v68, v121, v76
	;; [unrolled: 1-line block ×3, first 2 shown]
	ds_load_2addr_b64 v[71:74], v44 offset0:192 offset1:224
	v_pk_fma_f16 v123, v69, v122, v125
	v_mul_u32_u24_e32 v125, 0x10001, v149
	v_pk_fma_f16 v24, v69, v124, v24
	v_pk_fma_f16 v25, v70, v124, v25
	;; [unrolled: 1-line block ×3, first 2 shown]
	s_wait_dscnt 0x3
	v_lshrrev_b32_e32 v122, 16, v47
	v_mul_u32_u24_e32 v124, 0x10001, v151
	v_pk_fma_f16 v67, v69, v125, v67
	v_pk_fma_f16 v68, v70, v125, v68
	v_and_b32_e32 v125, 0xffff, v47
	v_mul_u32_u24_e32 v47, 0x10001, v154
	ds_load_b128 v[59:62], v37 offset:480
	ds_load_b128 v[63:66], v37 offset:496
	v_pk_fma_f16 v116, v69, v124, v116
	v_pk_fma_f16 v118, v70, v124, v118
	s_wait_dscnt 0x3
	v_pk_fma_f16 v24, v55, v47, v24
	v_pk_fma_f16 v25, v56, v47, v25
	v_mul_u32_u24_e32 v69, 0x10001, v152
	v_mul_u32_u24_e32 v70, 0x10001, v155
	v_mul_u32_u24_e32 v131, 0x10001, v153
	v_mul_u32_u24_e32 v132, 0x10001, v158
	ds_load_2addr_b64 v[16:19], v45 offset1:32
	v_pk_fma_f16 v123, v55, v69, v123
	v_pk_fma_f16 v121, v56, v69, v121
	;; [unrolled: 1-line block ×8, first 2 shown]
	v_mul_u32_u24_e32 v131, 0x10001, v156
	v_mul_u32_u24_e32 v132, 0x10001, v159
	;; [unrolled: 1-line block ×4, first 2 shown]
	ds_load_2addr_b64 v[75:78], v45 offset0:64 offset1:96
	v_pk_fma_f16 v123, v57, v131, v123
	v_pk_fma_f16 v121, v58, v131, v121
	v_lshrrev_b32_e32 v131, 16, v51
	v_pk_fma_f16 v116, v57, v132, v116
	v_pk_fma_f16 v118, v58, v132, v118
	;; [unrolled: 1-line block ×4, first 2 shown]
	v_and_b32_e32 v133, 0xffff, v51
	v_mul_u32_u24_e32 v51, 0x10001, v85
	v_mul_u32_u24_e32 v57, 0x10001, v83
	;; [unrolled: 1-line block ×5, first 2 shown]
	s_wait_dscnt 0x4
	v_pk_fma_f16 v24, v71, v51, v24
	v_pk_fma_f16 v25, v72, v51, v25
	;; [unrolled: 1-line block ×8, first 2 shown]
	v_mul_u32_u24_e32 v83, 0x10001, v99
	v_pk_fma_f16 v24, v73, v84, v24
	v_pk_fma_f16 v25, v74, v84, v25
	;; [unrolled: 1-line block ×6, first 2 shown]
	s_wait_dscnt 0x3
	v_lshrrev_b32_e32 v85, 16, v59
	v_mul_u32_u24_e32 v86, 0x10001, v102
	v_and_b32_e32 v100, 0xffff, v59
	v_mul_u32_u24_e32 v59, 0x10001, v97
	v_lshrrev_b32_e32 v107, 16, v79
	v_lshrrev_b32_e32 v108, 16, v80
	v_pk_fma_f16 v99, v73, v86, v101
	v_pk_fma_f16 v86, v74, v86, v116
	s_wait_dscnt 0x1
	v_pk_fma_f16 v24, v16, v59, v24
	v_pk_fma_f16 v25, v17, v59, v25
	v_mul_u32_u24_e32 v73, 0x10001, v95
	v_mul_u32_u24_e32 v74, 0x10001, v98
	;; [unrolled: 1-line block ×4, first 2 shown]
	v_and_b32_e32 v79, 0xffff, v79
	v_and_b32_e32 v80, 0xffff, v80
	v_lshrrev_b32_e32 v124, 16, v48
	v_and_b32_e32 v126, 0xffff, v48
	v_lshrrev_b32_e32 v127, 16, v49
	v_lshrrev_b32_e32 v128, 16, v50
	v_and_b32_e32 v129, 0xffff, v49
	v_and_b32_e32 v130, 0xffff, v50
	ds_load_2addr_b64 v[47:50], v45 offset0:128 offset1:160
	v_pk_fma_f16 v84, v16, v73, v84
	v_pk_fma_f16 v83, v17, v73, v83
	;; [unrolled: 1-line block ×8, first 2 shown]
	v_mul_u32_u24_e32 v95, 0x10001, v103
	v_mul_u32_u24_e32 v96, 0x10001, v106
	v_mul_u32_u24_e32 v98, 0x10001, v104
	v_lshrrev_b32_e32 v109, 16, v81
	v_lshrrev_b32_e32 v110, 16, v82
	v_and_b32_e32 v81, 0xffff, v81
	v_and_b32_e32 v82, 0xffff, v82
	v_pk_fma_f16 v84, v18, v95, v84
	v_pk_fma_f16 v83, v19, v95, v83
	;; [unrolled: 1-line block ×6, first 2 shown]
	v_mul_u32_u24_e32 v79, 0x10001, v79
	v_mul_u32_u24_e32 v98, 0x10001, v107
	;; [unrolled: 1-line block ×4, first 2 shown]
	v_lshrrev_b32_e32 v111, 16, v87
	v_lshrrev_b32_e32 v112, 16, v88
	v_and_b32_e32 v87, 0xffff, v87
	v_and_b32_e32 v88, 0xffff, v88
	ds_load_2addr_b64 v[67:70], v45 offset0:192 offset1:224
	v_mul_u32_u24_e32 v81, 0x10001, v81
	v_mul_u32_u24_e32 v103, 0x10001, v109
	;; [unrolled: 1-line block ×4, first 2 shown]
	s_wait_dscnt 0x2
	v_pk_fma_f16 v24, v75, v79, v24
	v_pk_fma_f16 v84, v75, v98, v84
	;; [unrolled: 1-line block ×8, first 2 shown]
	v_lshrrev_b32_e32 v113, 16, v89
	v_lshrrev_b32_e32 v114, 16, v90
	v_and_b32_e32 v89, 0xffff, v89
	v_and_b32_e32 v90, 0xffff, v90
	v_mul_u32_u24_e32 v87, 0x10001, v87
	v_mul_u32_u24_e32 v105, 0x10001, v111
	;; [unrolled: 1-line block ×4, first 2 shown]
	v_pk_fma_f16 v24, v77, v81, v24
	v_pk_fma_f16 v76, v77, v103, v84
	;; [unrolled: 1-line block ×8, first 2 shown]
	v_lshrrev_b32_e32 v115, 16, v91
	v_lshrrev_b32_e32 v117, 16, v92
	v_and_b32_e32 v91, 0xffff, v91
	v_and_b32_e32 v92, 0xffff, v92
	v_lshrrev_b32_e32 v132, 16, v52
	v_and_b32_e32 v134, 0xffff, v52
	v_lshrrev_b32_e32 v135, 16, v53
	v_lshrrev_b32_e32 v136, 16, v54
	v_and_b32_e32 v137, 0xffff, v53
	v_and_b32_e32 v138, 0xffff, v54
	ds_load_2addr_b64 v[51:54], v46 offset1:32
	v_mul_u32_u24_e32 v89, 0x10001, v89
	v_mul_u32_u24_e32 v107, 0x10001, v113
	;; [unrolled: 1-line block ×4, first 2 shown]
	s_wait_dscnt 0x2
	v_pk_fma_f16 v24, v47, v87, v24
	v_pk_fma_f16 v76, v47, v105, v76
	;; [unrolled: 1-line block ×8, first 2 shown]
	v_lshrrev_b32_e32 v119, 16, v93
	v_lshrrev_b32_e32 v120, 16, v94
	v_and_b32_e32 v93, 0xffff, v93
	v_and_b32_e32 v94, 0xffff, v94
	v_mul_u32_u24_e32 v91, 0x10001, v91
	v_mul_u32_u24_e32 v109, 0x10001, v115
	;; [unrolled: 1-line block ×4, first 2 shown]
	v_pk_fma_f16 v24, v49, v89, v24
	v_pk_fma_f16 v48, v49, v107, v76
	;; [unrolled: 1-line block ×8, first 2 shown]
	ds_load_2addr_b64 v[55:58], v46 offset0:64 offset1:96
	v_mul_u32_u24_e32 v93, 0x10001, v93
	v_mul_u32_u24_e32 v111, 0x10001, v119
	;; [unrolled: 1-line block ×4, first 2 shown]
	s_wait_dscnt 0x2
	v_pk_fma_f16 v24, v67, v91, v24
	v_pk_fma_f16 v48, v67, v109, v48
	;; [unrolled: 1-line block ×8, first 2 shown]
	v_mul_u32_u24_e32 v113, 0x10001, v125
	v_mul_u32_u24_e32 v114, 0x10001, v122
	;; [unrolled: 1-line block ×4, first 2 shown]
	v_pk_fma_f16 v24, v69, v93, v24
	v_pk_fma_f16 v48, v69, v111, v48
	v_pk_fma_f16 v50, v69, v94, v50
	v_pk_fma_f16 v16, v69, v112, v16
	v_pk_fma_f16 v25, v70, v93, v25
	v_pk_fma_f16 v47, v70, v111, v47
	v_pk_fma_f16 v49, v70, v94, v49
	v_pk_fma_f16 v17, v70, v112, v17
	v_lshrrev_b32_e32 v101, 16, v60
	v_and_b32_e32 v102, 0xffff, v60
	v_lshrrev_b32_e32 v116, 16, v61
	v_lshrrev_b32_e32 v118, 16, v62
	v_and_b32_e32 v121, 0xffff, v61
	v_and_b32_e32 v123, 0xffff, v62
	ds_load_2addr_b64 v[59:62], v46 offset0:128 offset1:160
	v_mul_u32_u24_e32 v119, 0x10001, v129
	v_mul_u32_u24_e32 v120, 0x10001, v127
	;; [unrolled: 1-line block ×4, first 2 shown]
	s_wait_dscnt 0x2
	v_pk_fma_f16 v24, v51, v113, v24
	v_pk_fma_f16 v48, v51, v114, v48
	;; [unrolled: 1-line block ×8, first 2 shown]
	v_mul_u32_u24_e32 v125, 0x10001, v133
	v_mul_u32_u24_e32 v126, 0x10001, v131
	;; [unrolled: 1-line block ×4, first 2 shown]
	v_pk_fma_f16 v24, v53, v119, v24
	v_pk_fma_f16 v48, v53, v120, v48
	;; [unrolled: 1-line block ×8, first 2 shown]
	ds_load_2addr_b64 v[71:74], v46 offset0:192 offset1:224
	v_mul_u32_u24_e32 v129, 0x10001, v137
	v_mul_u32_u24_e32 v130, 0x10001, v135
	;; [unrolled: 1-line block ×4, first 2 shown]
	s_wait_dscnt 0x2
	v_pk_fma_f16 v24, v55, v125, v24
	v_pk_fma_f16 v48, v55, v126, v48
	;; [unrolled: 1-line block ×8, first 2 shown]
	s_wait_loadcnt_dscnt 0x0
	s_barrier_signal -1
	s_barrier_wait -1
	global_inv scope:SCOPE_SE
	s_load_b32 s2, s[54:55], 0x4
	v_mul_u32_u24_e32 v100, 0x10001, v100
	v_mul_u32_u24_e32 v85, 0x10001, v85
	;; [unrolled: 1-line block ×4, first 2 shown]
	v_pk_fma_f16 v24, v57, v129, v24
	v_pk_fma_f16 v48, v57, v130, v48
	;; [unrolled: 1-line block ×8, first 2 shown]
	v_lshrrev_b32_e32 v95, 16, v63
	v_lshrrev_b32_e32 v96, 16, v64
	v_and_b32_e32 v18, 0xffff, v63
	v_and_b32_e32 v19, 0xffff, v64
	v_mul_u32_u24_e32 v121, 0x10001, v121
	v_mul_u32_u24_e32 v116, 0x10001, v116
	;; [unrolled: 1-line block ×4, first 2 shown]
	v_pk_fma_f16 v24, v59, v100, v24
	v_pk_fma_f16 v48, v59, v85, v48
	;; [unrolled: 1-line block ×8, first 2 shown]
	v_lshrrev_b32_e32 v63, 16, v65
	v_lshrrev_b32_e32 v64, 16, v66
	v_and_b32_e32 v65, 0xffff, v65
	v_and_b32_e32 v66, 0xffff, v66
	v_mul_u32_u24_e32 v18, 0x10001, v18
	v_mul_u32_u24_e32 v95, 0x10001, v95
	;; [unrolled: 1-line block ×4, first 2 shown]
	v_pk_fma_f16 v24, v61, v121, v24
	v_pk_fma_f16 v48, v61, v116, v48
	;; [unrolled: 1-line block ×8, first 2 shown]
	v_mul_u32_u24_e32 v65, 0x10001, v65
	v_mul_u32_u24_e32 v63, 0x10001, v63
	;; [unrolled: 1-line block ×4, first 2 shown]
	v_pk_fma_f16 v24, v71, v18, v24
	v_pk_fma_f16 v48, v71, v95, v48
	;; [unrolled: 1-line block ×8, first 2 shown]
	s_wait_kmcnt 0x0
	s_lshl_b32 s2, s2, 6
	v_pk_fma_f16 v53, v73, v65, v24
	v_pk_fma_f16 v51, v73, v63, v48
	;; [unrolled: 1-line block ×8, first 2 shown]
	s_wait_alu 0xfffe
	s_add_co_i32 s36, s2, s36
	s_wait_alu 0xfffe
	s_cmp_ge_i32 s36, s34
	s_cbranch_scc0 .LBB0_17
; %bb.18:
	v_dual_mov_b32 v5, 32 :: v_dual_mov_b32 v6, v28
.LBB0_19:
	s_delay_alu instid0(VALU_DEP_1)
	v_cmp_lt_i32_e32 vcc_lo, v33, v5
	s_cmp_lg_u64 s[44:45], 0
	s_cselect_b32 s2, -1, 0
	s_cmp_eq_u32 s30, 0
	s_wait_alu 0xfffd
	v_cndmask_b32_e32 v4, v6, v33, vcc_lo
	v_cmp_lt_i32_e32 vcc_lo, v32, v5
	s_cselect_b32 s3, -1, 0
	s_wait_alu 0xfffe
	s_and_b32 s2, s3, s2
	v_lshlrev_b32_e32 v4, 2, v4
	ds_bpermute_b32 v9, v4, v20
	s_wait_dscnt 0x0
	v_add_f32_e32 v9, v20, v9
	ds_bpermute_b32 v7, v4, v23
	ds_bpermute_b32 v8, v4, v22
	;; [unrolled: 1-line block ×3, first 2 shown]
	s_wait_dscnt 0x2
	s_wait_alu 0xfffd
	v_dual_add_f32 v7, v23, v7 :: v_dual_cndmask_b32 v10, v6, v32
	s_wait_dscnt 0x0
	v_add_f32_e32 v4, v21, v4
	v_cmp_lt_i32_e32 vcc_lo, v31, v5
	s_delay_alu instid0(VALU_DEP_3)
	v_lshlrev_b32_e32 v10, 2, v10
	ds_bpermute_b32 v15, v10, v9
	s_wait_dscnt 0x0
	v_add_f32_e32 v9, v9, v15
	ds_bpermute_b32 v11, v10, v7
	s_wait_alu 0xfffd
	v_cndmask_b32_e32 v16, v6, v31, vcc_lo
	v_cmp_lt_i32_e32 vcc_lo, v30, v5
	s_wait_dscnt 0x0
	s_delay_alu instid0(VALU_DEP_2)
	v_dual_add_f32 v7, v7, v11 :: v_dual_lshlrev_b32 v16, 2, v16
	v_add_f32_e32 v8, v22, v8
	ds_bpermute_b32 v14, v10, v8
	ds_bpermute_b32 v10, v10, v4
	s_wait_dscnt 0x0
	v_add_f32_e32 v4, v4, v10
	ds_bpermute_b32 v10, v16, v7
	ds_bpermute_b32 v15, v16, v4
	s_wait_dscnt 0x1
	v_add_f32_e32 v7, v7, v10
	v_add_f32_e32 v8, v8, v14
	ds_bpermute_b32 v14, v16, v9
	s_wait_dscnt 0x1
	v_add_f32_e32 v4, v4, v15
	ds_bpermute_b32 v11, v16, v8
	s_wait_alu 0xfffd
	v_cndmask_b32_e32 v16, v6, v30, vcc_lo
	v_cmp_lt_i32_e32 vcc_lo, v29, v5
	s_wait_alu 0xfffd
	s_delay_alu instid0(VALU_DEP_2)
	v_dual_cndmask_b32 v5, v6, v29 :: v_dual_lshlrev_b32 v16, 2, v16
	s_wait_alu 0xfffe
	s_and_b32 vcc_lo, exec_lo, s2
	ds_bpermute_b32 v10, v16, v7
	v_lshlrev_b32_e32 v5, 2, v5
	ds_bpermute_b32 v15, v16, v4
	s_wait_dscnt 0x2
	v_dual_add_f32 v9, v9, v14 :: v_dual_add_f32 v8, v8, v11
	ds_bpermute_b32 v14, v16, v9
	ds_bpermute_b32 v11, v16, v8
	s_wait_dscnt 0x0
	v_dual_add_f32 v6, v7, v10 :: v_dual_add_f32 v7, v8, v11
	v_dual_add_f32 v8, v9, v14 :: v_dual_add_f32 v9, v4, v15
	ds_bpermute_b32 v4, v5, v6
	ds_bpermute_b32 v10, v5, v7
	;; [unrolled: 1-line block ×4, first 2 shown]
	s_wait_dscnt 0x2
	v_dual_add_f32 v4, v6, v4 :: v_dual_add_f32 v5, v7, v10
	s_wait_dscnt 0x0
	v_dual_add_f32 v6, v8, v11 :: v_dual_add_f32 v7, v9, v14
	s_wait_alu 0xfffe
	s_cbranch_vccz .LBB0_22
; %bb.20:
	v_dual_max_num_f32 v15, v1, v1 :: v_dual_add_nc_u32 v8, s31, v26
	s_delay_alu instid0(VALU_DEP_1) | instskip(NEXT) | instid1(VALU_DEP_1)
	v_ashrrev_i32_e32 v9, 31, v8
	v_lshlrev_b64_e32 v[8:9], 2, v[8:9]
	s_delay_alu instid0(VALU_DEP_1) | instskip(SKIP_1) | instid1(VALU_DEP_2)
	v_add_co_u32 v8, vcc_lo, s44, v8
	s_wait_alu 0xfffd
	v_add_co_ci_u32_e64 v9, null, s45, v9, vcc_lo
	global_load_b128 v[8:11], v[8:9], off
	v_max_num_f32_e32 v14, v0, v0
	s_wait_loadcnt 0x0
	v_dual_max_num_f32 v16, v2, v2 :: v_dual_max_num_f32 v17, v8, v8
	v_dual_max_num_f32 v19, v9, v9 :: v_dual_max_num_f32 v20, v10, v10
	s_delay_alu instid0(VALU_DEP_2) | instskip(NEXT) | instid1(VALU_DEP_2)
	v_dual_max_num_f32 v21, v11, v11 :: v_dual_max_num_f32 v14, v14, v17
	v_dual_max_num_f32 v15, v15, v19 :: v_dual_max_num_f32 v16, v16, v20
	v_max_num_f32_e32 v18, v3, v3
	s_delay_alu instid0(VALU_DEP_2) | instskip(SKIP_1) | instid1(VALU_DEP_3)
	v_dual_sub_f32 v8, v8, v14 :: v_dual_sub_f32 v9, v9, v15
	v_sub_f32_e32 v19, v1, v15
	v_dual_max_num_f32 v17, v18, v21 :: v_dual_sub_f32 v18, v0, v14
	v_sub_f32_e32 v20, v2, v16
	s_delay_alu instid0(VALU_DEP_2)
	v_dual_sub_f32 v10, v10, v16 :: v_dual_sub_f32 v11, v11, v17
	v_dual_sub_f32 v21, v3, v17 :: v_dual_mov_b32 v0, v14
	v_dual_mov_b32 v1, v15 :: v_dual_mov_b32 v2, v16
	v_dual_mov_b32 v3, v17 :: v_dual_mul_f32 v14, 0x3fb8aa3b, v18
	v_mul_f32_e32 v17, 0x3fb8aa3b, v9
	v_dual_mul_f32 v15, 0x3fb8aa3b, v8 :: v_dual_mul_f32 v16, 0x3fb8aa3b, v19
	v_mul_f32_e32 v23, 0x3fb8aa3b, v10
	s_delay_alu instid0(VALU_DEP_4)
	v_fma_f32 v28, 0x3fb8aa3b, v18, -v14
	v_rndne_f32_e32 v29, v14
	v_dual_mul_f32 v22, 0x3fb8aa3b, v20 :: v_dual_mul_f32 v25, 0x3fb8aa3b, v11
	v_fma_f32 v30, 0x3fb8aa3b, v8, -v15
	v_rndne_f32_e32 v31, v15
	v_rndne_f32_e32 v35, v17
	;; [unrolled: 1-line block ×3, first 2 shown]
	v_fmac_f32_e32 v28, 0x32a5705f, v18
	v_sub_f32_e32 v14, v14, v29
	v_dual_mul_f32 v24, 0x3fb8aa3b, v21 :: v_dual_sub_f32 v15, v15, v31
	v_fma_f32 v32, 0x3fb8aa3b, v19, -v16
	v_fma_f32 v34, 0x3fb8aa3b, v9, -v17
	;; [unrolled: 1-line block ×3, first 2 shown]
	v_rndne_f32_e32 v43, v25
	v_dual_fmac_f32 v30, 0x32a5705f, v8 :: v_dual_sub_f32 v17, v17, v35
	v_dual_sub_f32 v23, v23, v39 :: v_dual_add_f32 v14, v14, v28
	v_rndne_f32_e32 v33, v16
	v_fma_f32 v42, 0x3fb8aa3b, v11, -v25
	v_dual_fmac_f32 v38, 0x32a5705f, v10 :: v_dual_sub_f32 v25, v25, v43
	v_dual_fmac_f32 v32, 0x32a5705f, v19 :: v_dual_add_f32 v15, v15, v30
	v_exp_f32_e32 v14, v14
	v_cvt_i32_f32_e32 v29, v29
	s_delay_alu instid0(VALU_DEP_3)
	v_dual_fmac_f32 v34, 0x32a5705f, v9 :: v_dual_add_f32 v23, v23, v38
	v_sub_f32_e32 v16, v16, v33
	v_exp_f32_e32 v15, v15
	v_fma_f32 v36, 0x3fb8aa3b, v20, -v22
	v_rndne_f32_e32 v37, v22
	v_cvt_i32_f32_e32 v31, v31
	v_dual_add_f32 v17, v17, v34 :: v_dual_add_f32 v16, v16, v32
	s_delay_alu instid0(TRANS32_DEP_2)
	v_ldexp_f32 v14, v14, v29
	v_cmp_ngt_f32_e32 vcc_lo, 0xc2ce8ed0, v18
	v_fmac_f32_e32 v42, 0x32a5705f, v11
	v_fmac_f32_e32 v36, 0x32a5705f, v20
	v_exp_f32_e32 v16, v16
	v_ldexp_f32 v15, v15, v31
	s_wait_alu 0xfffd
	v_cndmask_b32_e32 v14, 0, v14, vcc_lo
	v_cmp_ngt_f32_e32 vcc_lo, 0xc2ce8ed0, v8
	v_sub_f32_e32 v22, v22, v37
	v_cvt_i32_f32_e32 v33, v33
	v_add_f32_e32 v25, v25, v42
	v_exp_f32_e32 v17, v17
	s_wait_alu 0xfffd
	v_dual_cndmask_b32 v15, 0, v15 :: v_dual_add_f32 v22, v22, v36
	v_cvt_i32_f32_e32 v35, v35
	v_ldexp_f32 v16, v16, v33
	v_cmp_ngt_f32_e32 vcc_lo, 0xc2ce8ed0, v19
	v_cvt_i32_f32_e32 v37, v37
	v_exp_f32_e32 v22, v22
	v_exp_f32_e32 v23, v23
	v_fma_f32 v40, 0x3fb8aa3b, v21, -v24
	v_ldexp_f32 v17, v17, v35
	s_wait_alu 0xfffd
	v_cndmask_b32_e32 v16, 0, v16, vcc_lo
	v_cmp_ngt_f32_e32 vcc_lo, 0xc2ce8ed0, v9
	v_rndne_f32_e32 v41, v24
	v_cvt_i32_f32_e32 v39, v39
	v_exp_f32_e32 v25, v25
	v_cvt_i32_f32_e32 v30, v43
	v_ldexp_f32 v22, v22, v37
	s_wait_alu 0xfffd
	v_cndmask_b32_e32 v17, 0, v17, vcc_lo
	v_cmp_ngt_f32_e32 vcc_lo, 0xc2ce8ed0, v20
	v_sub_f32_e32 v24, v24, v41
	v_ldexp_f32 v23, v23, v39
	v_cvt_i32_f32_e32 v28, v41
	s_wait_alu 0xfffd
	v_cndmask_b32_e32 v22, 0, v22, vcc_lo
	v_cmp_ngt_f32_e32 vcc_lo, 0xc2ce8ed0, v10
	v_fmac_f32_e32 v40, 0x32a5705f, v21
	v_ldexp_f32 v25, v25, v30
	s_wait_alu 0xfffd
	s_delay_alu instid0(VALU_DEP_2) | instskip(SKIP_1) | instid1(VALU_DEP_2)
	v_dual_cndmask_b32 v23, 0, v23 :: v_dual_add_f32 v24, v24, v40
	v_cmp_ngt_f32_e32 vcc_lo, 0xc2ce8ed0, v21
	v_exp_f32_e32 v24, v24
	s_delay_alu instid0(TRANS32_DEP_1) | instskip(SKIP_1) | instid1(VALU_DEP_1)
	v_ldexp_f32 v24, v24, v28
	s_wait_alu 0xfffd
	v_cndmask_b32_e32 v24, 0, v24, vcc_lo
	v_cmp_ngt_f32_e32 vcc_lo, 0xc2ce8ed0, v11
	s_wait_alu 0xfffd
	v_cndmask_b32_e32 v25, 0, v25, vcc_lo
	v_cmp_nlt_f32_e32 vcc_lo, 0x42b17218, v18
	s_wait_alu 0xfffd
	v_cndmask_b32_e32 v14, 0x7f800000, v14, vcc_lo
	v_cmp_nlt_f32_e32 vcc_lo, 0x42b17218, v8
	;; [unrolled: 3-line block ×3, first 2 shown]
	s_wait_alu 0xfffd
	s_delay_alu instid0(VALU_DEP_2)
	v_dual_fmac_f32 v8, v4, v14 :: v_dual_cndmask_b32 v15, 0x7f800000, v16
	v_cmp_nlt_f32_e32 vcc_lo, 0x42b17218, v9
	v_cvt_f16_f32_e32 v4, v14
	s_wait_alu 0xfffd
	v_cndmask_b32_e32 v9, 0x7f800000, v17, vcc_lo
	v_cmp_nlt_f32_e32 vcc_lo, 0x42b17218, v20
	s_delay_alu instid0(VALU_DEP_2) | instskip(SKIP_1) | instid1(VALU_DEP_1)
	v_fmac_f32_e32 v9, v5, v15
	v_cvt_f16_f32_e32 v5, v15
	v_and_b32_e32 v15, 0xffff, v5
	s_wait_alu 0xfffd
	s_delay_alu instid0(VALU_DEP_3) | instskip(SKIP_1) | instid1(VALU_DEP_3)
	v_dual_mov_b32 v5, v9 :: v_dual_cndmask_b32 v16, 0x7f800000, v22
	v_cmp_nlt_f32_e32 vcc_lo, 0x42b17218, v10
	v_mul_u32_u24_e32 v15, 0x10001, v15
	s_wait_alu 0xfffd
	v_cndmask_b32_e32 v10, 0x7f800000, v23, vcc_lo
	v_cmp_nlt_f32_e32 vcc_lo, 0x42b17218, v21
	s_delay_alu instid0(VALU_DEP_3) | instskip(SKIP_1) | instid1(VALU_DEP_4)
	v_pk_mul_f16 v51, v51, v15
	v_pk_mul_f16 v52, v52, v15
	v_fmac_f32_e32 v10, v6, v16
	s_wait_alu 0xfffd
	v_cndmask_b32_e32 v17, 0x7f800000, v24, vcc_lo
	v_cmp_nlt_f32_e32 vcc_lo, 0x42b17218, v11
	v_cvt_f16_f32_e32 v6, v16
	s_delay_alu instid0(VALU_DEP_3) | instskip(SKIP_2) | instid1(VALU_DEP_3)
	v_cvt_f16_f32_e32 v14, v17
	s_wait_alu 0xfffd
	v_cndmask_b32_e32 v11, 0x7f800000, v25, vcc_lo
	v_and_b32_e32 v16, 0xffff, v6
	v_mov_b32_e32 v6, v10
	s_delay_alu instid0(VALU_DEP_3) | instskip(SKIP_1) | instid1(VALU_DEP_4)
	v_dual_fmac_f32 v11, v7, v17 :: v_dual_and_b32 v14, 0xffff, v14
	v_and_b32_e32 v7, 0xffff, v4
	v_mul_u32_u24_e32 v16, 0x10001, v16
	v_mov_b32_e32 v4, v8
	s_delay_alu instid0(VALU_DEP_4) | instskip(NEXT) | instid1(VALU_DEP_4)
	v_mul_u32_u24_e32 v14, 0x10001, v14
	v_mul_u32_u24_e32 v7, 0x10001, v7
	s_delay_alu instid0(VALU_DEP_4) | instskip(SKIP_1) | instid1(VALU_DEP_4)
	v_pk_mul_f16 v48, v48, v16
	v_pk_mul_f16 v50, v50, v16
	;; [unrolled: 1-line block ×6, first 2 shown]
	v_mov_b32_e32 v7, v11
	s_mov_b32 s2, exec_lo
	v_cmpx_gt_i32_e64 s26, v12
	s_cbranch_execnz .LBB0_23
.LBB0_21:
	s_nop 0
	s_sendmsg sendmsg(MSG_DEALLOC_VGPRS)
	s_endpgm
.LBB0_22:
	s_delay_alu instid0(VALU_DEP_1)
	v_dual_mov_b32 v11, v7 :: v_dual_mov_b32 v10, v6
	v_dual_mov_b32 v9, v5 :: v_dual_mov_b32 v8, v4
	s_mov_b32 s2, exec_lo
	v_cmpx_gt_i32_e64 s26, v12
	s_cbranch_execz .LBB0_21
.LBB0_23:
	s_load_b32 s1, s[0:1], 0xd4
	v_mov_b32_e32 v16, 1.0
	s_wait_kmcnt 0x0
	s_cmp_lg_u32 s1, 1
	s_cselect_b32 s3, -1, 0
	s_cmp_eq_u32 s1, 1
	s_cselect_b32 s2, -1, 0
	s_wait_alu 0xfffe
	s_and_b32 vcc_lo, exec_lo, s3
	s_wait_alu 0xfffe
	s_cbranch_vccnz .LBB0_25
; %bb.24:
	v_div_scale_f32 v14, null, v4, v4, 1.0
	s_delay_alu instid0(VALU_DEP_1) | instskip(NEXT) | instid1(TRANS32_DEP_1)
	v_rcp_f32_e32 v15, v14
	v_fma_f32 v16, -v14, v15, 1.0
	s_delay_alu instid0(VALU_DEP_1) | instskip(SKIP_1) | instid1(VALU_DEP_1)
	v_fmac_f32_e32 v15, v16, v15
	v_div_scale_f32 v16, vcc_lo, 1.0, v4, 1.0
	v_mul_f32_e32 v17, v16, v15
	s_delay_alu instid0(VALU_DEP_1) | instskip(NEXT) | instid1(VALU_DEP_1)
	v_fma_f32 v18, -v14, v17, v16
	v_fmac_f32_e32 v17, v18, v15
	s_delay_alu instid0(VALU_DEP_1) | instskip(SKIP_1) | instid1(VALU_DEP_1)
	v_fma_f32 v14, -v14, v17, v16
	s_wait_alu 0xfffd
	v_div_fmas_f32 v14, v14, v15, v17
	s_delay_alu instid0(VALU_DEP_1)
	v_div_fixup_f32 v16, v14, v4, 1.0
.LBB0_25:
	v_mad_co_u64_u32 v[14:15], null, s28, s26, v[12:13]
	v_cmp_eq_u32_e32 vcc_lo, 0, v13
	v_cvt_f32_f16_e32 v18, v54
	v_cvt_f32_f16_e32 v17, v53
	s_delay_alu instid0(VALU_DEP_2) | instskip(SKIP_1) | instid1(VALU_DEP_3)
	v_mul_f32_e32 v19, v16, v18
	v_mul_lo_u32 v4, v14, s27
	v_mul_f32_e32 v17, v16, v17
	s_delay_alu instid0(VALU_DEP_2) | instskip(NEXT) | instid1(VALU_DEP_1)
	v_add3_u32 v4, s31, v26, v4
	v_mad_co_u64_u32 v[14:15], null, s1, v4, s[30:31]
	v_lshrrev_b32_e32 v4, 16, v53
	v_lshrrev_b32_e32 v15, 16, v54
	s_delay_alu instid0(VALU_DEP_2) | instskip(SKIP_2) | instid1(VALU_DEP_4)
	v_cvt_f32_f16_e32 v4, v4
	v_mov_b32_e32 v13, 0
	v_lshl_add_u32 v12, v14, 7, v27
	v_cvt_f32_f16_e32 v15, v15
	s_delay_alu instid0(VALU_DEP_4) | instskip(NEXT) | instid1(VALU_DEP_3)
	v_mul_f32_e32 v18, v16, v4
	v_lshlrev_b64_e32 v[12:13], 2, v[12:13]
	s_delay_alu instid0(VALU_DEP_3) | instskip(NEXT) | instid1(VALU_DEP_2)
	v_mul_f32_e32 v20, v16, v15
	v_add_co_u32 v12, s0, s48, v12
	s_wait_alu 0xf1ff
	s_delay_alu instid0(VALU_DEP_3)
	v_add_co_ci_u32_e64 v13, null, s49, v13, s0
	s_and_b32 s0, vcc_lo, s3
	global_store_b128 v[12:13], v[17:20], off
	s_wait_alu 0xfffe
	s_and_saveexec_b32 s3, s0
	s_cbranch_execz .LBB0_27
; %bb.26:
	v_ashrrev_i32_e32 v15, 31, v14
	v_mov_b32_e32 v16, v8
	s_delay_alu instid0(VALU_DEP_2) | instskip(SKIP_1) | instid1(VALU_DEP_2)
	v_lshlrev_b64_e32 v[12:13], 3, v[14:15]
	v_mov_b32_e32 v15, v0
	v_add_co_u32 v12, vcc_lo, s50, v12
	s_wait_alu 0xfffd
	s_delay_alu instid0(VALU_DEP_3)
	v_add_co_ci_u32_e64 v13, null, s51, v13, vcc_lo
	global_store_b64 v[12:13], v[15:16], off
.LBB0_27:
	s_wait_alu 0xfffe
	s_or_b32 exec_lo, exec_lo, s3
	v_cndmask_b32_e64 v12, 0, 1, s2
	v_mov_b32_e32 v0, 1.0
	s_and_not1_b32 vcc_lo, exec_lo, s2
	s_wait_alu 0xfffe
	s_cbranch_vccnz .LBB0_29
; %bb.28:
	v_div_scale_f32 v0, null, v5, v5, 1.0
	s_delay_alu instid0(VALU_DEP_1) | instskip(NEXT) | instid1(TRANS32_DEP_1)
	v_rcp_f32_e32 v4, v0
	v_fma_f32 v8, -v0, v4, 1.0
	s_delay_alu instid0(VALU_DEP_1) | instskip(SKIP_1) | instid1(VALU_DEP_1)
	v_fmac_f32_e32 v4, v8, v4
	v_div_scale_f32 v8, vcc_lo, 1.0, v5, 1.0
	v_mul_f32_e32 v13, v8, v4
	s_delay_alu instid0(VALU_DEP_1) | instskip(NEXT) | instid1(VALU_DEP_1)
	v_fma_f32 v15, -v0, v13, v8
	v_fmac_f32_e32 v13, v15, v4
	s_delay_alu instid0(VALU_DEP_1) | instskip(SKIP_1) | instid1(VALU_DEP_1)
	v_fma_f32 v0, -v0, v13, v8
	s_wait_alu 0xfffd
	v_div_fmas_f32 v0, v0, v4, v13
	s_delay_alu instid0(VALU_DEP_1)
	v_div_fixup_f32 v0, v0, v5, 1.0
.LBB0_29:
	v_cvt_f32_f16_e32 v15, v51
	v_add_nc_u32_e32 v4, s1, v14
	v_cvt_f32_f16_e32 v16, v52
	v_mov_b32_e32 v14, 0
	v_lshrrev_b32_e32 v5, 16, v51
	v_lshrrev_b32_e32 v8, 16, v52
	v_lshl_add_u32 v13, v4, 7, v27
	s_delay_alu instid0(VALU_DEP_3) | instskip(NEXT) | instid1(VALU_DEP_3)
	v_cvt_f32_f16_e32 v5, v5
	v_cvt_f32_f16_e32 v8, v8
	s_delay_alu instid0(VALU_DEP_3)
	v_lshlrev_b64_e32 v[17:18], 2, v[13:14]
	v_mul_f32_e32 v13, v0, v15
	v_mul_f32_e32 v15, v0, v16
	v_mul_f32_e32 v14, v0, v5
	v_mul_f32_e32 v16, v0, v8
	v_add_co_u32 v17, vcc_lo, s48, v17
	s_wait_alu 0xfffd
	v_add_co_ci_u32_e64 v18, null, s49, v18, vcc_lo
	global_store_b128 v[17:18], v[13:16], off
	s_and_saveexec_b32 s2, s0
	s_cbranch_execz .LBB0_31
; %bb.30:
	v_ashrrev_i32_e32 v5, 31, v4
	v_mov_b32_e32 v8, v1
	s_delay_alu instid0(VALU_DEP_2) | instskip(NEXT) | instid1(VALU_DEP_1)
	v_lshlrev_b64_e32 v[13:14], 3, v[4:5]
	v_add_co_u32 v13, vcc_lo, s50, v13
	s_wait_alu 0xfffd
	s_delay_alu instid0(VALU_DEP_2)
	v_add_co_ci_u32_e64 v14, null, s51, v14, vcc_lo
	global_store_b64 v[13:14], v[8:9], off
.LBB0_31:
	s_wait_alu 0xfffe
	s_or_b32 exec_lo, exec_lo, s2
	v_cmp_ne_u32_e32 vcc_lo, 1, v12
	v_mov_b32_e32 v1, 1.0
	s_cbranch_vccnz .LBB0_33
; %bb.32:
	v_div_scale_f32 v0, null, v6, v6, 1.0
	s_delay_alu instid0(VALU_DEP_1) | instskip(NEXT) | instid1(TRANS32_DEP_1)
	v_rcp_f32_e32 v1, v0
	v_fma_f32 v5, -v0, v1, 1.0
	s_delay_alu instid0(VALU_DEP_1) | instskip(SKIP_1) | instid1(VALU_DEP_1)
	v_fmac_f32_e32 v1, v5, v1
	v_div_scale_f32 v5, vcc_lo, 1.0, v6, 1.0
	v_mul_f32_e32 v8, v5, v1
	s_delay_alu instid0(VALU_DEP_1) | instskip(NEXT) | instid1(VALU_DEP_1)
	v_fma_f32 v9, -v0, v8, v5
	v_fmac_f32_e32 v8, v9, v1
	s_delay_alu instid0(VALU_DEP_1) | instskip(SKIP_1) | instid1(VALU_DEP_1)
	v_fma_f32 v0, -v0, v8, v5
	s_wait_alu 0xfffd
	v_div_fmas_f32 v0, v0, v1, v8
	s_delay_alu instid0(VALU_DEP_1)
	v_div_fixup_f32 v1, v0, v6, 1.0
.LBB0_33:
	v_dual_mov_b32 v5, 0 :: v_dual_add_nc_u32 v0, s1, v4
	v_lshrrev_b32_e32 v6, 16, v48
	v_lshrrev_b32_e32 v8, 16, v50
	v_cvt_f32_f16_e32 v9, v48
	s_delay_alu instid0(VALU_DEP_4)
	v_lshl_add_u32 v4, v0, 7, v27
	v_cvt_f32_f16_e32 v14, v50
	v_cvt_f32_f16_e32 v6, v6
	;; [unrolled: 1-line block ×3, first 2 shown]
	v_mul_f32_e32 v13, v1, v9
	v_lshlrev_b64_e32 v[4:5], 2, v[4:5]
	v_mul_f32_e32 v15, v1, v14
	v_mul_f32_e32 v14, v1, v6
	;; [unrolled: 1-line block ×3, first 2 shown]
	s_delay_alu instid0(VALU_DEP_4)
	v_add_co_u32 v4, vcc_lo, s48, v4
	s_wait_alu 0xfffd
	v_add_co_ci_u32_e64 v5, null, s49, v5, vcc_lo
	global_store_b128 v[4:5], v[13:16], off
	s_and_saveexec_b32 s2, s0
	s_cbranch_execz .LBB0_35
; %bb.34:
	v_ashrrev_i32_e32 v1, 31, v0
	v_mov_b32_e32 v9, v2
	s_delay_alu instid0(VALU_DEP_2) | instskip(NEXT) | instid1(VALU_DEP_1)
	v_lshlrev_b64_e32 v[4:5], 3, v[0:1]
	v_add_co_u32 v4, vcc_lo, s50, v4
	s_wait_alu 0xfffd
	s_delay_alu instid0(VALU_DEP_2)
	v_add_co_ci_u32_e64 v5, null, s51, v5, vcc_lo
	global_store_b64 v[4:5], v[9:10], off
.LBB0_35:
	s_wait_alu 0xfffe
	s_or_b32 exec_lo, exec_lo, s2
	v_cmp_ne_u32_e32 vcc_lo, 1, v12
	v_mov_b32_e32 v1, 1.0
	s_cbranch_vccnz .LBB0_37
; %bb.36:
	v_div_scale_f32 v1, null, v7, v7, 1.0
	s_delay_alu instid0(VALU_DEP_1) | instskip(NEXT) | instid1(TRANS32_DEP_1)
	v_rcp_f32_e32 v2, v1
	v_fma_f32 v4, -v1, v2, 1.0
	s_delay_alu instid0(VALU_DEP_1) | instskip(SKIP_1) | instid1(VALU_DEP_1)
	v_fmac_f32_e32 v2, v4, v2
	v_div_scale_f32 v4, vcc_lo, 1.0, v7, 1.0
	v_mul_f32_e32 v5, v4, v2
	s_delay_alu instid0(VALU_DEP_1) | instskip(NEXT) | instid1(VALU_DEP_1)
	v_fma_f32 v6, -v1, v5, v4
	v_fmac_f32_e32 v5, v6, v2
	s_delay_alu instid0(VALU_DEP_1) | instskip(SKIP_1) | instid1(VALU_DEP_1)
	v_fma_f32 v1, -v1, v5, v4
	s_wait_alu 0xfffd
	v_div_fmas_f32 v1, v1, v2, v5
	s_delay_alu instid0(VALU_DEP_1)
	v_div_fixup_f32 v1, v1, v7, 1.0
.LBB0_37:
	v_dual_mov_b32 v5, 0 :: v_dual_add_nc_u32 v0, s1, v0
	v_lshrrev_b32_e32 v2, 16, v49
	v_lshrrev_b32_e32 v6, 16, v47
	v_cvt_f32_f16_e32 v7, v49
	s_delay_alu instid0(VALU_DEP_4) | instskip(SKIP_3) | instid1(VALU_DEP_4)
	v_lshl_add_u32 v4, v0, 7, v27
	v_cvt_f32_f16_e32 v10, v47
	v_cvt_f32_f16_e32 v2, v2
	;; [unrolled: 1-line block ×3, first 2 shown]
	v_lshlrev_b64_e32 v[8:9], 2, v[4:5]
	v_mul_f32_e32 v4, v1, v7
	v_mul_f32_e32 v6, v1, v10
	;; [unrolled: 1-line block ×4, first 2 shown]
	v_add_co_u32 v1, vcc_lo, s48, v8
	s_wait_alu 0xfffd
	v_add_co_ci_u32_e64 v2, null, s49, v9, vcc_lo
	global_store_b128 v[1:2], v[4:7], off
	s_and_b32 exec_lo, exec_lo, s0
	s_cbranch_execz .LBB0_21
; %bb.38:
	v_ashrrev_i32_e32 v1, 31, v0
	v_mov_b32_e32 v10, v3
	s_delay_alu instid0(VALU_DEP_2) | instskip(NEXT) | instid1(VALU_DEP_1)
	v_lshlrev_b64_e32 v[0:1], 3, v[0:1]
	v_add_co_u32 v0, vcc_lo, s50, v0
	s_wait_alu 0xfffd
	s_delay_alu instid0(VALU_DEP_2)
	v_add_co_ci_u32_e64 v1, null, s51, v1, vcc_lo
	global_store_b64 v[0:1], v[10:11], off
	s_nop 0
	s_sendmsg sendmsg(MSG_DEALLOC_VGPRS)
	s_endpgm
	.section	.rodata,"a",@progbits
	.p2align	6, 0x0
	.amdhsa_kernel _ZL15flash_attn_tileILi192ELi128ELi2ELi16ELb0EEvPKcS1_S1_S1_S1_PKiPfP15HIP_vector_typeIfLj2EEffffjfiS5_IjLj3EEiiiiiiiiiiiliiliiiiil
		.amdhsa_group_segment_fixed_size 25600
		.amdhsa_private_segment_fixed_size 0
		.amdhsa_kernarg_size 464
		.amdhsa_user_sgpr_count 2
		.amdhsa_user_sgpr_dispatch_ptr 0
		.amdhsa_user_sgpr_queue_ptr 0
		.amdhsa_user_sgpr_kernarg_segment_ptr 1
		.amdhsa_user_sgpr_dispatch_id 0
		.amdhsa_user_sgpr_private_segment_size 0
		.amdhsa_wavefront_size32 1
		.amdhsa_uses_dynamic_stack 0
		.amdhsa_enable_private_segment 0
		.amdhsa_system_sgpr_workgroup_id_x 1
		.amdhsa_system_sgpr_workgroup_id_y 1
		.amdhsa_system_sgpr_workgroup_id_z 1
		.amdhsa_system_sgpr_workgroup_info 0
		.amdhsa_system_vgpr_workitem_id 1
		.amdhsa_next_free_vgpr 160
		.amdhsa_next_free_sgpr 56
		.amdhsa_reserve_vcc 1
		.amdhsa_float_round_mode_32 0
		.amdhsa_float_round_mode_16_64 0
		.amdhsa_float_denorm_mode_32 3
		.amdhsa_float_denorm_mode_16_64 3
		.amdhsa_fp16_overflow 0
		.amdhsa_workgroup_processor_mode 1
		.amdhsa_memory_ordered 1
		.amdhsa_forward_progress 1
		.amdhsa_inst_pref_size 148
		.amdhsa_round_robin_scheduling 0
		.amdhsa_exception_fp_ieee_invalid_op 0
		.amdhsa_exception_fp_denorm_src 0
		.amdhsa_exception_fp_ieee_div_zero 0
		.amdhsa_exception_fp_ieee_overflow 0
		.amdhsa_exception_fp_ieee_underflow 0
		.amdhsa_exception_fp_ieee_inexact 0
		.amdhsa_exception_int_div_zero 0
	.end_amdhsa_kernel
	.section	.text._ZL15flash_attn_tileILi192ELi128ELi2ELi16ELb0EEvPKcS1_S1_S1_S1_PKiPfP15HIP_vector_typeIfLj2EEffffjfiS5_IjLj3EEiiiiiiiiiiiliiliiiiil,"axG",@progbits,_ZL15flash_attn_tileILi192ELi128ELi2ELi16ELb0EEvPKcS1_S1_S1_S1_PKiPfP15HIP_vector_typeIfLj2EEffffjfiS5_IjLj3EEiiiiiiiiiiiliiliiiiil,comdat
.Lfunc_end0:
	.size	_ZL15flash_attn_tileILi192ELi128ELi2ELi16ELb0EEvPKcS1_S1_S1_S1_PKiPfP15HIP_vector_typeIfLj2EEffffjfiS5_IjLj3EEiiiiiiiiiiiliiliiiiil, .Lfunc_end0-_ZL15flash_attn_tileILi192ELi128ELi2ELi16ELb0EEvPKcS1_S1_S1_S1_PKiPfP15HIP_vector_typeIfLj2EEffffjfiS5_IjLj3EEiiiiiiiiiiiliiliiiiil
                                        ; -- End function
	.set _ZL15flash_attn_tileILi192ELi128ELi2ELi16ELb0EEvPKcS1_S1_S1_S1_PKiPfP15HIP_vector_typeIfLj2EEffffjfiS5_IjLj3EEiiiiiiiiiiiliiliiiiil.num_vgpr, 160
	.set _ZL15flash_attn_tileILi192ELi128ELi2ELi16ELb0EEvPKcS1_S1_S1_S1_PKiPfP15HIP_vector_typeIfLj2EEffffjfiS5_IjLj3EEiiiiiiiiiiiliiliiiiil.num_agpr, 0
	.set _ZL15flash_attn_tileILi192ELi128ELi2ELi16ELb0EEvPKcS1_S1_S1_S1_PKiPfP15HIP_vector_typeIfLj2EEffffjfiS5_IjLj3EEiiiiiiiiiiiliiliiiiil.numbered_sgpr, 56
	.set _ZL15flash_attn_tileILi192ELi128ELi2ELi16ELb0EEvPKcS1_S1_S1_S1_PKiPfP15HIP_vector_typeIfLj2EEffffjfiS5_IjLj3EEiiiiiiiiiiiliiliiiiil.num_named_barrier, 0
	.set _ZL15flash_attn_tileILi192ELi128ELi2ELi16ELb0EEvPKcS1_S1_S1_S1_PKiPfP15HIP_vector_typeIfLj2EEffffjfiS5_IjLj3EEiiiiiiiiiiiliiliiiiil.private_seg_size, 0
	.set _ZL15flash_attn_tileILi192ELi128ELi2ELi16ELb0EEvPKcS1_S1_S1_S1_PKiPfP15HIP_vector_typeIfLj2EEffffjfiS5_IjLj3EEiiiiiiiiiiiliiliiiiil.uses_vcc, 1
	.set _ZL15flash_attn_tileILi192ELi128ELi2ELi16ELb0EEvPKcS1_S1_S1_S1_PKiPfP15HIP_vector_typeIfLj2EEffffjfiS5_IjLj3EEiiiiiiiiiiiliiliiiiil.uses_flat_scratch, 0
	.set _ZL15flash_attn_tileILi192ELi128ELi2ELi16ELb0EEvPKcS1_S1_S1_S1_PKiPfP15HIP_vector_typeIfLj2EEffffjfiS5_IjLj3EEiiiiiiiiiiiliiliiiiil.has_dyn_sized_stack, 0
	.set _ZL15flash_attn_tileILi192ELi128ELi2ELi16ELb0EEvPKcS1_S1_S1_S1_PKiPfP15HIP_vector_typeIfLj2EEffffjfiS5_IjLj3EEiiiiiiiiiiiliiliiiiil.has_recursion, 0
	.set _ZL15flash_attn_tileILi192ELi128ELi2ELi16ELb0EEvPKcS1_S1_S1_S1_PKiPfP15HIP_vector_typeIfLj2EEffffjfiS5_IjLj3EEiiiiiiiiiiiliiliiiiil.has_indirect_call, 0
	.section	.AMDGPU.csdata,"",@progbits
; Kernel info:
; codeLenInByte = 18840
; TotalNumSgprs: 58
; NumVgprs: 160
; ScratchSize: 0
; MemoryBound: 0
; FloatMode: 240
; IeeeMode: 1
; LDSByteSize: 25600 bytes/workgroup (compile time only)
; SGPRBlocks: 0
; VGPRBlocks: 19
; NumSGPRsForWavesPerEU: 58
; NumVGPRsForWavesPerEU: 160
; Occupancy: 9
; WaveLimiterHint : 1
; COMPUTE_PGM_RSRC2:SCRATCH_EN: 0
; COMPUTE_PGM_RSRC2:USER_SGPR: 2
; COMPUTE_PGM_RSRC2:TRAP_HANDLER: 0
; COMPUTE_PGM_RSRC2:TGID_X_EN: 1
; COMPUTE_PGM_RSRC2:TGID_Y_EN: 1
; COMPUTE_PGM_RSRC2:TGID_Z_EN: 1
; COMPUTE_PGM_RSRC2:TIDIG_COMP_CNT: 1
	.section	.text._ZL25flash_attn_mask_to_KV_maxILi2EEvPK7__half2Piiii,"axG",@progbits,_ZL25flash_attn_mask_to_KV_maxILi2EEvPK7__half2Piiii,comdat
	.globl	_ZL25flash_attn_mask_to_KV_maxILi2EEvPK7__half2Piiii ; -- Begin function _ZL25flash_attn_mask_to_KV_maxILi2EEvPK7__half2Piiii
	.p2align	8
	.type	_ZL25flash_attn_mask_to_KV_maxILi2EEvPK7__half2Piiii,@function
_ZL25flash_attn_mask_to_KV_maxILi2EEvPK7__half2Piiii: ; @_ZL25flash_attn_mask_to_KV_maxILi2EEvPK7__half2Piiii
; %bb.0:
	s_load_b64 s[8:9], s[0:1], 0x0
	s_mov_b32 s2, exec_lo
	v_cmpx_gt_u32_e32 32, v0
; %bb.1:
	v_dual_mov_b32 v2, 1 :: v_dual_lshlrev_b32 v1, 2, v0
	ds_store_b32 v1, v2
; %bb.2:
	s_or_b32 exec_lo, exec_lo, s2
	s_clause 0x2
	s_load_b96 s[4:6], s[0:1], 0x10
	s_load_b64 s[2:3], s[0:1], 0x8
	s_load_b32 s1, s[0:1], 0x20
	v_dual_mov_b32 v2, 0 :: v_dual_and_b32 v1, 31, v0
	v_lshrrev_b32_e32 v3, 3, v0
	s_wait_dscnt 0x0
	s_barrier_signal -1
	s_delay_alu instid0(VALU_DEP_2)
	v_lshlrev_b32_e32 v4, 2, v1
	s_barrier_wait -1
	global_inv scope:SCOPE_SE
	s_wait_kmcnt 0x0
	s_mul_i32 s0, ttmp9, s5
	s_mul_i32 s6, s6, ttmp7
	s_lshl_b32 s0, s0, 1
	s_delay_alu instid0(SALU_CYCLE_1) | instskip(SKIP_2) | instid1(SALU_CYCLE_1)
	s_add_co_i32 s6, s6, s0
	v_cmp_eq_u32_e64 s0, 0, v1
	s_ashr_i32 s7, s6, 31
	s_lshl_b64 s[6:7], s[6:7], 2
	s_delay_alu instid0(SALU_CYCLE_1)
	s_add_nc_u64 s[6:7], s[8:9], s[6:7]
	s_lshl_b32 s8, s4, 8
	s_branch .LBB1_4
.LBB1_3:                                ;   in Loop: Header=BB1_4 Depth=1
	s_wait_alu 0xfffe
	s_or_b32 exec_lo, exec_lo, s9
	s_wait_dscnt 0x0
	s_barrier_signal -1
	s_barrier_wait -1
	global_inv scope:SCOPE_SE
	ds_load_b32 v1, v4
	s_wait_loadcnt_dscnt 0x0
	s_barrier_signal -1
	s_barrier_wait -1
	global_inv scope:SCOPE_SE
	v_cmp_ne_u32_e32 vcc_lo, 0, v1
	s_cmp_lg_u32 vcc_lo, exec_lo
	s_cselect_b32 s9, -1, 0
	s_wait_alu 0xfffe
	s_and_b32 vcc_lo, exec_lo, s9
	s_wait_alu 0xfffe
	s_cbranch_vccnz .LBB1_12
.LBB1_4:                                ; =>This Inner Loop Header: Depth=1
	s_mov_b32 s4, s8
	s_addk_co_i32 s8, 0xff00
	s_wait_alu 0xfffe
	s_cmp_lt_i32 s8, 0
	s_cbranch_scc1 .LBB1_11
; %bb.5:                                ;   in Loop: Header=BB1_4 Depth=1
	s_lshr_b32 s9, s8, 1
	s_wait_alu 0xfffe
	v_add_nc_u32_e32 v1, s9, v0
	s_delay_alu instid0(VALU_DEP_1) | instskip(NEXT) | instid1(VALU_DEP_1)
	v_lshlrev_b64_e32 v[5:6], 2, v[1:2]
	v_add_co_u32 v5, vcc_lo, s6, v5
	s_wait_alu 0xfffd
	s_delay_alu instid0(VALU_DEP_2) | instskip(SKIP_4) | instid1(VALU_DEP_2)
	v_add_co_ci_u32_e64 v6, null, s7, v6, vcc_lo
	global_load_b32 v5, v[5:6], off
	s_wait_loadcnt 0x0
	v_lshrrev_b32_e32 v6, 16, v5
	v_cmp_class_f16_e64 s9, v5, 0x204
	v_cmp_class_f16_e64 s10, v6, 0x204
	s_and_b32 s11, s9, s10
	s_mov_b32 s10, 0
	s_wait_alu 0xfffe
	s_and_saveexec_b32 s9, s11
	s_cbranch_execz .LBB1_9
; %bb.6:                                ;   in Loop: Header=BB1_4 Depth=1
	v_add_nc_u32_e32 v5, s5, v1
	s_delay_alu instid0(VALU_DEP_1) | instskip(NEXT) | instid1(VALU_DEP_1)
	v_ashrrev_i32_e32 v6, 31, v5
	v_lshlrev_b64_e32 v[5:6], 2, v[5:6]
	s_delay_alu instid0(VALU_DEP_1) | instskip(SKIP_1) | instid1(VALU_DEP_2)
	v_add_co_u32 v5, vcc_lo, s6, v5
	s_wait_alu 0xfffd
	v_add_co_ci_u32_e64 v6, null, s7, v6, vcc_lo
	global_load_b32 v1, v[5:6], off
	s_wait_loadcnt 0x0
	v_cmp_class_f16_e64 s12, v1, 0x204
	s_and_saveexec_b32 s11, s12
; %bb.7:                                ;   in Loop: Header=BB1_4 Depth=1
	v_lshrrev_b32_e32 v1, 16, v1
	s_delay_alu instid0(VALU_DEP_1)
	v_cmp_class_f16_e64 s10, v1, 0x204
	s_and_b32 s10, s10, exec_lo
; %bb.8:                                ;   in Loop: Header=BB1_4 Depth=1
	s_wait_alu 0xfffe
	s_or_b32 exec_lo, exec_lo, s11
	s_delay_alu instid0(SALU_CYCLE_1)
	s_and_b32 s10, s10, exec_lo
.LBB1_9:                                ;   in Loop: Header=BB1_4 Depth=1
	s_wait_alu 0xfffe
	s_or_b32 exec_lo, exec_lo, s9
	v_cndmask_b32_e64 v1, 0, 1, s10
	s_mov_b32 s11, exec_lo
	s_delay_alu instid0(VALU_DEP_1)
	v_cmp_ne_u32_e32 vcc_lo, 0, v1
	s_and_saveexec_b32 s9, s0
	s_cbranch_execz .LBB1_3
; %bb.10:                               ;   in Loop: Header=BB1_4 Depth=1
	s_wait_alu 0xfffe
	s_cmp_eq_u32 vcc_lo, s11
	s_cselect_b32 s10, -1, 0
	s_wait_alu 0xfffe
	v_cndmask_b32_e64 v1, 0, 1, s10
	ds_store_b32 v3, v1
	s_branch .LBB1_3
.LBB1_11:                               ;   in Loop: Header=BB1_4 Depth=1
	s_cbranch_execz .LBB1_4
.LBB1_12:
	s_mov_b32 s0, exec_lo
	v_cmpx_eq_u32_e32 0, v0
	s_cbranch_execz .LBB1_14
; %bb.13:
	s_mul_i32 s0, s1, ttmp7
	v_dual_mov_b32 v0, 0 :: v_dual_mov_b32 v1, s4
	s_add_co_i32 s0, s0, ttmp9
	s_delay_alu instid0(SALU_CYCLE_1) | instskip(NEXT) | instid1(SALU_CYCLE_1)
	s_ashr_i32 s1, s0, 31
	s_lshl_b64 s[0:1], s[0:1], 2
	s_delay_alu instid0(SALU_CYCLE_1)
	s_add_nc_u64 s[0:1], s[2:3], s[0:1]
	global_store_b32 v0, v1, s[0:1]
.LBB1_14:
	s_endpgm
	.section	.rodata,"a",@progbits
	.p2align	6, 0x0
	.amdhsa_kernel _ZL25flash_attn_mask_to_KV_maxILi2EEvPK7__half2Piiii
		.amdhsa_group_segment_fixed_size 128
		.amdhsa_private_segment_fixed_size 0
		.amdhsa_kernarg_size 288
		.amdhsa_user_sgpr_count 2
		.amdhsa_user_sgpr_dispatch_ptr 0
		.amdhsa_user_sgpr_queue_ptr 0
		.amdhsa_user_sgpr_kernarg_segment_ptr 1
		.amdhsa_user_sgpr_dispatch_id 0
		.amdhsa_user_sgpr_private_segment_size 0
		.amdhsa_wavefront_size32 1
		.amdhsa_uses_dynamic_stack 0
		.amdhsa_enable_private_segment 0
		.amdhsa_system_sgpr_workgroup_id_x 1
		.amdhsa_system_sgpr_workgroup_id_y 1
		.amdhsa_system_sgpr_workgroup_id_z 0
		.amdhsa_system_sgpr_workgroup_info 0
		.amdhsa_system_vgpr_workitem_id 0
		.amdhsa_next_free_vgpr 7
		.amdhsa_next_free_sgpr 13
		.amdhsa_reserve_vcc 1
		.amdhsa_float_round_mode_32 0
		.amdhsa_float_round_mode_16_64 0
		.amdhsa_float_denorm_mode_32 3
		.amdhsa_float_denorm_mode_16_64 3
		.amdhsa_fp16_overflow 0
		.amdhsa_workgroup_processor_mode 1
		.amdhsa_memory_ordered 1
		.amdhsa_forward_progress 1
		.amdhsa_inst_pref_size 5
		.amdhsa_round_robin_scheduling 0
		.amdhsa_exception_fp_ieee_invalid_op 0
		.amdhsa_exception_fp_denorm_src 0
		.amdhsa_exception_fp_ieee_div_zero 0
		.amdhsa_exception_fp_ieee_overflow 0
		.amdhsa_exception_fp_ieee_underflow 0
		.amdhsa_exception_fp_ieee_inexact 0
		.amdhsa_exception_int_div_zero 0
	.end_amdhsa_kernel
	.section	.text._ZL25flash_attn_mask_to_KV_maxILi2EEvPK7__half2Piiii,"axG",@progbits,_ZL25flash_attn_mask_to_KV_maxILi2EEvPK7__half2Piiii,comdat
.Lfunc_end1:
	.size	_ZL25flash_attn_mask_to_KV_maxILi2EEvPK7__half2Piiii, .Lfunc_end1-_ZL25flash_attn_mask_to_KV_maxILi2EEvPK7__half2Piiii
                                        ; -- End function
	.set _ZL25flash_attn_mask_to_KV_maxILi2EEvPK7__half2Piiii.num_vgpr, 7
	.set _ZL25flash_attn_mask_to_KV_maxILi2EEvPK7__half2Piiii.num_agpr, 0
	.set _ZL25flash_attn_mask_to_KV_maxILi2EEvPK7__half2Piiii.numbered_sgpr, 13
	.set _ZL25flash_attn_mask_to_KV_maxILi2EEvPK7__half2Piiii.num_named_barrier, 0
	.set _ZL25flash_attn_mask_to_KV_maxILi2EEvPK7__half2Piiii.private_seg_size, 0
	.set _ZL25flash_attn_mask_to_KV_maxILi2EEvPK7__half2Piiii.uses_vcc, 1
	.set _ZL25flash_attn_mask_to_KV_maxILi2EEvPK7__half2Piiii.uses_flat_scratch, 0
	.set _ZL25flash_attn_mask_to_KV_maxILi2EEvPK7__half2Piiii.has_dyn_sized_stack, 0
	.set _ZL25flash_attn_mask_to_KV_maxILi2EEvPK7__half2Piiii.has_recursion, 0
	.set _ZL25flash_attn_mask_to_KV_maxILi2EEvPK7__half2Piiii.has_indirect_call, 0
	.section	.AMDGPU.csdata,"",@progbits
; Kernel info:
; codeLenInByte = 636
; TotalNumSgprs: 15
; NumVgprs: 7
; ScratchSize: 0
; MemoryBound: 0
; FloatMode: 240
; IeeeMode: 1
; LDSByteSize: 128 bytes/workgroup (compile time only)
; SGPRBlocks: 0
; VGPRBlocks: 0
; NumSGPRsForWavesPerEU: 15
; NumVGPRsForWavesPerEU: 7
; Occupancy: 16
; WaveLimiterHint : 0
; COMPUTE_PGM_RSRC2:SCRATCH_EN: 0
; COMPUTE_PGM_RSRC2:USER_SGPR: 2
; COMPUTE_PGM_RSRC2:TRAP_HANDLER: 0
; COMPUTE_PGM_RSRC2:TGID_X_EN: 1
; COMPUTE_PGM_RSRC2:TGID_Y_EN: 1
; COMPUTE_PGM_RSRC2:TGID_Z_EN: 0
; COMPUTE_PGM_RSRC2:TIDIG_COMP_CNT: 0
	.section	.text._ZL33flash_attn_stream_k_fixup_uniformILi128ELi2ELi16EEvPfPK15HIP_vector_typeIfLj2EEiiiiiiS1_IjLj3EES5_S5_,"axG",@progbits,_ZL33flash_attn_stream_k_fixup_uniformILi128ELi2ELi16EEvPfPK15HIP_vector_typeIfLj2EEiiiiiiS1_IjLj3EES5_S5_,comdat
	.globl	_ZL33flash_attn_stream_k_fixup_uniformILi128ELi2ELi16EEvPfPK15HIP_vector_typeIfLj2EEiiiiiiS1_IjLj3EES5_S5_ ; -- Begin function _ZL33flash_attn_stream_k_fixup_uniformILi128ELi2ELi16EEvPfPK15HIP_vector_typeIfLj2EEiiiiiiS1_IjLj3EES5_S5_
	.p2align	8
	.type	_ZL33flash_attn_stream_k_fixup_uniformILi128ELi2ELi16EEvPfPK15HIP_vector_typeIfLj2EEiiiiiiS1_IjLj3EES5_S5_,@function
_ZL33flash_attn_stream_k_fixup_uniformILi128ELi2ELi16EEvPfPK15HIP_vector_typeIfLj2EEiiiiiiS1_IjLj3EES5_S5_: ; @_ZL33flash_attn_stream_k_fixup_uniformILi128ELi2ELi16EEvPfPK15HIP_vector_typeIfLj2EEiiiiiiS1_IjLj3EES5_S5_
; %bb.0:
	s_clause 0x1
	s_load_b256 s[4:11], s[0:1], 0x1c
	s_load_b128 s[12:15], s[0:1], 0x3c
	s_wait_kmcnt 0x0
	s_mul_hi_u32 s2, s7, ttmp9
	s_delay_alu instid0(SALU_CYCLE_1) | instskip(NEXT) | instid1(SALU_CYCLE_1)
	s_add_co_i32 s2, ttmp9, s2
	s_lshr_b32 s2, s2, s8
	s_delay_alu instid0(SALU_CYCLE_1) | instskip(SKIP_2) | instid1(SALU_CYCLE_1)
	s_mul_i32 s3, s2, s9
	s_load_b64 s[8:9], s[0:1], 0x10
	s_sub_co_i32 s7, ttmp9, s3
	s_mul_hi_u32 s3, s7, s10
	s_delay_alu instid0(SALU_CYCLE_1) | instskip(NEXT) | instid1(SALU_CYCLE_1)
	s_add_co_i32 s3, s7, s3
	s_lshr_b32 s3, s3, s11
	s_delay_alu instid0(SALU_CYCLE_1) | instskip(NEXT) | instid1(SALU_CYCLE_1)
	s_mul_i32 s10, s3, s12
	s_sub_co_i32 s7, s7, s10
	s_delay_alu instid0(SALU_CYCLE_1) | instskip(NEXT) | instid1(SALU_CYCLE_1)
	s_mul_hi_u32 s10, s7, s13
	s_add_co_i32 s10, s7, s10
	s_delay_alu instid0(SALU_CYCLE_1) | instskip(NEXT) | instid1(SALU_CYCLE_1)
	s_lshr_b32 s12, s10, s14
	s_mul_i32 s10, s12, s15
	s_lshl_b32 s12, s12, 4
	s_sub_co_i32 s11, s7, s10
	s_and_b32 s7, ttmp7, 0xffff
	s_lshl_b32 s13, s11, 1
	s_lshr_b32 s10, ttmp7, 16
	s_add_co_i32 s13, s13, s7
	s_wait_kmcnt 0x0
	s_cmp_lt_i32 s13, s8
	s_cselect_b32 s13, -1, 0
	s_add_co_i32 s14, s12, s10
	s_delay_alu instid0(SALU_CYCLE_1) | instskip(SKIP_1) | instid1(SALU_CYCLE_1)
	s_cmp_lt_i32 s14, s5
	s_cselect_b32 s14, -1, 0
	s_and_b32 s13, s13, s14
	s_delay_alu instid0(SALU_CYCLE_1)
	s_and_not1_b32 vcc_lo, exec_lo, s13
	s_cbranch_vccnz .LBB2_6
; %bb.1:
	s_mul_i32 s2, s2, s8
	s_mul_i32 s5, s3, s5
	s_add_co_i32 s2, s2, s7
	s_delay_alu instid0(SALU_CYCLE_1) | instskip(NEXT) | instid1(SALU_CYCLE_1)
	s_mul_i32 s2, s2, s9
	s_add_co_i32 s8, s2, s10
	s_load_b128 s[0:3], s[0:1], 0x0
	s_add_co_i32 s5, s8, s5
	s_mul_i32 s8, s9, s11
	s_add_co_i32 s5, s5, s12
	s_lshl_b32 s8, s8, 8
	s_lshl_b32 s5, s5, 7
	s_delay_alu instid0(SALU_CYCLE_1)
	s_add_co_i32 s8, s8, s5
	s_lshl_b32 s5, s7, 4
	v_or_b32_e32 v1, s8, v0
	s_mul_i32 s8, s6, ttmp9
	s_wait_alu 0xfffe
	s_add_co_i32 s9, s8, s6
	s_wait_alu 0xfffe
	s_add_co_i32 s12, s9, -2
	v_ashrrev_i32_e32 v2, 31, v1
	s_delay_alu instid0(VALU_DEP_1) | instskip(SKIP_1) | instid1(VALU_DEP_1)
	v_lshlrev_b64_e32 v[1:2], 2, v[1:2]
	s_wait_kmcnt 0x0
	v_add_co_u32 v1, vcc_lo, s0, v1
	s_delay_alu instid0(VALU_DEP_1)
	v_add_co_ci_u32_e64 v2, null, s1, v2, vcc_lo
	s_add_co_i32 s0, s5, s10
	s_lshl_b32 s1, s9, 5
	global_load_b32 v5, v[1:2], off
	s_wait_alu 0xfffe
	s_add_co_i32 s0, s0, s1
	s_wait_alu 0xfffe
	s_sub_co_i32 s0, s0, 32
	s_wait_alu 0xfffe
	s_ashr_i32 s1, s0, 31
	s_wait_alu 0xfffe
	s_lshl_b64 s[0:1], s[0:1], 3
	s_cmp_lt_i32 s12, s8
	s_wait_alu 0xfffe
	s_add_nc_u64 s[0:1], s[2:3], s[0:1]
	s_load_b32 s11, s[0:1], 0x4
	s_cbranch_scc1 .LBB2_4
; %bb.2:
	s_load_b32 s0, s[0:1], 0x0
	s_add_co_i32 s13, ttmp9, 1
	s_lshl_b32 s12, s4, 7
	s_mul_i32 s1, s6, s13
	s_lshl_b32 s6, s7, 11
	s_lshl_b32 s7, s10, 7
	s_wait_alu 0xfffe
	s_lshl_b32 s14, s1, 12
	s_add_co_i32 s6, s7, s6
	s_lshl_b32 s1, s1, 5
	s_add_co_i32 s14, s6, s14
	s_wait_alu 0xfffe
	s_add_co_i32 s1, s10, s1
	v_or_b32_e32 v0, s14, v0
	s_lshl_b32 s4, s4, 5
	s_ashr_i32 s13, s12, 31
	s_wait_alu 0xfffe
	s_add_co_i32 s1, s1, s4
	s_wait_kmcnt 0x0
	v_dual_mov_b32 v6, s11 :: v_dual_add_nc_u32 v3, 0xffffe000, v0
	s_lshl_b64 s[6:7], s[12:13], 2
	s_wait_alu 0xfffe
	s_add_co_i32 s4, s1, s5
	s_add_nc_u64 s[6:7], s[2:3], s[6:7]
	s_add_co_i32 s1, s9, -1
	s_sub_co_i32 s4, s4, 64
.LBB2_3:                                ; =>This Inner Loop Header: Depth=1
	v_ashrrev_i32_e32 v4, 31, v3
	s_ashr_i32 s5, s4, 31
	v_mov_b32_e32 v10, v6
	s_lshl_b64 s[10:11], s[4:5], 3
	s_wait_loadcnt 0x0
	v_mov_b32_e32 v9, v5
	v_lshlrev_b64_e32 v[7:8], 2, v[3:4]
	s_wait_alu 0xfffe
	s_add_nc_u64 s[10:11], s[2:3], s[10:11]
	v_max_num_f32_e64 v4, s0, s0
	s_load_b64 s[10:11], s[10:11], 0x0
	v_add_nc_u32_e32 v3, 0xfffff000, v3
	v_add_co_u32 v7, vcc_lo, s6, v7
	s_wait_alu 0xfffd
	v_add_co_ci_u32_e64 v8, null, s7, v8, vcc_lo
	v_readfirstlane_b32 s5, v4
	global_load_b32 v0, v[7:8], off
	s_wait_kmcnt 0x0
	v_max_num_f32_e64 v4, s10, s10
	s_delay_alu instid0(VALU_DEP_1) | instskip(SKIP_1) | instid1(SALU_CYCLE_3)
	v_readfirstlane_b32 s9, v4
	s_max_num_f32 s5, s5, s9
	s_sub_f32 s0, s0, s5
	s_sub_f32 s9, s10, s5
	s_wait_alu 0xfffe
	s_delay_alu instid0(SALU_CYCLE_1) | instskip(NEXT) | instid1(SALU_CYCLE_1)
	s_mul_f32 s10, s0, 0x3fb8aa3b
	s_mul_f32 s12, s9, 0x3fb8aa3b
	s_wait_alu 0xfffe
	s_delay_alu instid0(SALU_CYCLE_1)
	s_xor_b32 s13, s10, 0x80000000
	s_rndne_f32 s14, s10
	s_fmamk_f32 s13, s0, 0x3fb8aa3b, s13
	s_cmp_nlt_f32 s0, 0xc2ce8ed0
	s_rndne_f32 s15, s12
	s_wait_alu 0xfffe
	s_sub_f32 s10, s10, s14
	s_fmamk_f32 s13, s0, 0x32a5705f, s13
	s_cvt_i32_f32 s14, s14
	s_cselect_b32 vcc_lo, -1, 0
	s_cmp_ngt_f32 s0, 0x42b17218
	s_wait_alu 0xfffe
	s_add_f32 s10, s10, s13
	s_sub_f32 s13, s12, s15
	s_wait_alu 0xfffe
	s_delay_alu instid0(SALU_CYCLE_1) | instskip(SKIP_1) | instid1(TRANS32_DEP_1)
	v_s_exp_f32 s10, s10
	s_wait_alu 0xf1ff
	v_ldexp_f32 v4, s10, s14
	s_cvt_i32_f32 s10, s15
	s_delay_alu instid0(VALU_DEP_1) | instskip(SKIP_3) | instid1(VALU_DEP_1)
	v_cndmask_b32_e32 v4, 0, v4, vcc_lo
	s_cselect_b32 vcc_lo, -1, 0
	s_cmp_ge_f32 s0, 0xc1a00000
	s_wait_alu 0xfffe
	v_cndmask_b32_e32 v4, 0x7f800000, v4, vcc_lo
	s_cselect_b32 vcc_lo, -1, 0
	s_xor_b32 s0, s12, 0x80000000
	s_cmp_nlt_f32 s9, 0xc2ce8ed0
	s_wait_alu 0xfffe
	s_fmamk_f32 s0, s9, 0x3fb8aa3b, s0
	s_wait_alu 0xfffe
	s_delay_alu instid0(SALU_CYCLE_2) | instskip(SKIP_1) | instid1(SALU_CYCLE_2)
	s_fmamk_f32 s0, s9, 0x32a5705f, s0
	s_wait_alu 0xfffe
	s_add_f32 s0, s13, s0
	s_wait_alu 0xfffe
	s_delay_alu instid0(SALU_CYCLE_2) | instskip(SKIP_1) | instid1(TRANS32_DEP_1)
	v_s_exp_f32 s0, s0
	s_wait_alu 0xf1ff
	v_ldexp_f32 v7, s0, s10
	s_cselect_b32 s0, -1, 0
	s_cmp_ngt_f32 s9, 0x42b17218
	s_wait_alu 0xfffe
	s_delay_alu instid0(VALU_DEP_1) | instskip(SKIP_3) | instid1(VALU_DEP_1)
	v_cndmask_b32_e64 v7, 0, v7, s0
	s_cselect_b32 s0, -1, 0
	s_cmp_ge_f32 s9, 0xc1a00000
	s_wait_alu 0xfffe
	v_cndmask_b32_e64 v7, 0x7f800000, v7, s0
	s_cselect_b32 s0, -1, 0
	s_add_co_i32 s1, s1, -1
	s_sub_co_i32 s4, s4, 32
	s_wait_alu 0xfffe
	s_cmp_le_i32 s1, s8
	v_cndmask_b32_e64 v7, 0, v7, s0
	s_mov_b32 s0, s5
	s_wait_loadcnt 0x0
	s_delay_alu instid0(VALU_DEP_1) | instskip(NEXT) | instid1(VALU_DEP_1)
	v_dual_mul_f32 v5, v0, v7 :: v_dual_cndmask_b32 v4, 0, v4
	v_dual_mul_f32 v8, s11, v7 :: v_dual_fmac_f32 v5, v9, v4
	s_delay_alu instid0(VALU_DEP_1) | instskip(NEXT) | instid1(VALU_DEP_1)
	v_mov_b32_e32 v6, v8
	v_fmac_f32_e32 v6, v10, v4
	s_cbranch_scc0 .LBB2_3
	s_branch .LBB2_5
.LBB2_4:
	s_wait_kmcnt 0x0
	v_mov_b32_e32 v6, s11
.LBB2_5:
	s_wait_loadcnt 0x0
	s_delay_alu instid0(VALU_DEP_1) | instskip(NEXT) | instid1(VALU_DEP_1)
	v_div_scale_f32 v0, null, v6, v6, v5
	v_rcp_f32_e32 v3, v0
	s_delay_alu instid0(TRANS32_DEP_1) | instskip(NEXT) | instid1(VALU_DEP_1)
	v_fma_f32 v4, -v0, v3, 1.0
	v_fmac_f32_e32 v3, v4, v3
	v_div_scale_f32 v4, vcc_lo, v5, v6, v5
	s_delay_alu instid0(VALU_DEP_1) | instskip(NEXT) | instid1(VALU_DEP_1)
	v_mul_f32_e32 v7, v4, v3
	v_fma_f32 v8, -v0, v7, v4
	s_delay_alu instid0(VALU_DEP_1) | instskip(NEXT) | instid1(VALU_DEP_1)
	v_fmac_f32_e32 v7, v8, v3
	v_fma_f32 v0, -v0, v7, v4
	s_wait_alu 0xfffd
	s_delay_alu instid0(VALU_DEP_1) | instskip(NEXT) | instid1(VALU_DEP_1)
	v_div_fmas_f32 v0, v0, v3, v7
	v_div_fixup_f32 v0, v0, v6, v5
	global_store_b32 v[1:2], v0, off
.LBB2_6:
	s_endpgm
	.section	.rodata,"a",@progbits
	.p2align	6, 0x0
	.amdhsa_kernel _ZL33flash_attn_stream_k_fixup_uniformILi128ELi2ELi16EEvPfPK15HIP_vector_typeIfLj2EEiiiiiiS1_IjLj3EES5_S5_
		.amdhsa_group_segment_fixed_size 0
		.amdhsa_private_segment_fixed_size 0
		.amdhsa_kernarg_size 76
		.amdhsa_user_sgpr_count 2
		.amdhsa_user_sgpr_dispatch_ptr 0
		.amdhsa_user_sgpr_queue_ptr 0
		.amdhsa_user_sgpr_kernarg_segment_ptr 1
		.amdhsa_user_sgpr_dispatch_id 0
		.amdhsa_user_sgpr_private_segment_size 0
		.amdhsa_wavefront_size32 1
		.amdhsa_uses_dynamic_stack 0
		.amdhsa_enable_private_segment 0
		.amdhsa_system_sgpr_workgroup_id_x 1
		.amdhsa_system_sgpr_workgroup_id_y 1
		.amdhsa_system_sgpr_workgroup_id_z 1
		.amdhsa_system_sgpr_workgroup_info 0
		.amdhsa_system_vgpr_workitem_id 0
		.amdhsa_next_free_vgpr 11
		.amdhsa_next_free_sgpr 16
		.amdhsa_reserve_vcc 1
		.amdhsa_float_round_mode_32 0
		.amdhsa_float_round_mode_16_64 0
		.amdhsa_float_denorm_mode_32 3
		.amdhsa_float_denorm_mode_16_64 3
		.amdhsa_fp16_overflow 0
		.amdhsa_workgroup_processor_mode 1
		.amdhsa_memory_ordered 1
		.amdhsa_forward_progress 1
		.amdhsa_inst_pref_size 9
		.amdhsa_round_robin_scheduling 0
		.amdhsa_exception_fp_ieee_invalid_op 0
		.amdhsa_exception_fp_denorm_src 0
		.amdhsa_exception_fp_ieee_div_zero 0
		.amdhsa_exception_fp_ieee_overflow 0
		.amdhsa_exception_fp_ieee_underflow 0
		.amdhsa_exception_fp_ieee_inexact 0
		.amdhsa_exception_int_div_zero 0
	.end_amdhsa_kernel
	.section	.text._ZL33flash_attn_stream_k_fixup_uniformILi128ELi2ELi16EEvPfPK15HIP_vector_typeIfLj2EEiiiiiiS1_IjLj3EES5_S5_,"axG",@progbits,_ZL33flash_attn_stream_k_fixup_uniformILi128ELi2ELi16EEvPfPK15HIP_vector_typeIfLj2EEiiiiiiS1_IjLj3EES5_S5_,comdat
.Lfunc_end2:
	.size	_ZL33flash_attn_stream_k_fixup_uniformILi128ELi2ELi16EEvPfPK15HIP_vector_typeIfLj2EEiiiiiiS1_IjLj3EES5_S5_, .Lfunc_end2-_ZL33flash_attn_stream_k_fixup_uniformILi128ELi2ELi16EEvPfPK15HIP_vector_typeIfLj2EEiiiiiiS1_IjLj3EES5_S5_
                                        ; -- End function
	.set _ZL33flash_attn_stream_k_fixup_uniformILi128ELi2ELi16EEvPfPK15HIP_vector_typeIfLj2EEiiiiiiS1_IjLj3EES5_S5_.num_vgpr, 11
	.set _ZL33flash_attn_stream_k_fixup_uniformILi128ELi2ELi16EEvPfPK15HIP_vector_typeIfLj2EEiiiiiiS1_IjLj3EES5_S5_.num_agpr, 0
	.set _ZL33flash_attn_stream_k_fixup_uniformILi128ELi2ELi16EEvPfPK15HIP_vector_typeIfLj2EEiiiiiiS1_IjLj3EES5_S5_.numbered_sgpr, 16
	.set _ZL33flash_attn_stream_k_fixup_uniformILi128ELi2ELi16EEvPfPK15HIP_vector_typeIfLj2EEiiiiiiS1_IjLj3EES5_S5_.num_named_barrier, 0
	.set _ZL33flash_attn_stream_k_fixup_uniformILi128ELi2ELi16EEvPfPK15HIP_vector_typeIfLj2EEiiiiiiS1_IjLj3EES5_S5_.private_seg_size, 0
	.set _ZL33flash_attn_stream_k_fixup_uniformILi128ELi2ELi16EEvPfPK15HIP_vector_typeIfLj2EEiiiiiiS1_IjLj3EES5_S5_.uses_vcc, 1
	.set _ZL33flash_attn_stream_k_fixup_uniformILi128ELi2ELi16EEvPfPK15HIP_vector_typeIfLj2EEiiiiiiS1_IjLj3EES5_S5_.uses_flat_scratch, 0
	.set _ZL33flash_attn_stream_k_fixup_uniformILi128ELi2ELi16EEvPfPK15HIP_vector_typeIfLj2EEiiiiiiS1_IjLj3EES5_S5_.has_dyn_sized_stack, 0
	.set _ZL33flash_attn_stream_k_fixup_uniformILi128ELi2ELi16EEvPfPK15HIP_vector_typeIfLj2EEiiiiiiS1_IjLj3EES5_S5_.has_recursion, 0
	.set _ZL33flash_attn_stream_k_fixup_uniformILi128ELi2ELi16EEvPfPK15HIP_vector_typeIfLj2EEiiiiiiS1_IjLj3EES5_S5_.has_indirect_call, 0
	.section	.AMDGPU.csdata,"",@progbits
; Kernel info:
; codeLenInByte = 1140
; TotalNumSgprs: 18
; NumVgprs: 11
; ScratchSize: 0
; MemoryBound: 0
; FloatMode: 240
; IeeeMode: 1
; LDSByteSize: 0 bytes/workgroup (compile time only)
; SGPRBlocks: 0
; VGPRBlocks: 1
; NumSGPRsForWavesPerEU: 18
; NumVGPRsForWavesPerEU: 11
; Occupancy: 16
; WaveLimiterHint : 0
; COMPUTE_PGM_RSRC2:SCRATCH_EN: 0
; COMPUTE_PGM_RSRC2:USER_SGPR: 2
; COMPUTE_PGM_RSRC2:TRAP_HANDLER: 0
; COMPUTE_PGM_RSRC2:TGID_X_EN: 1
; COMPUTE_PGM_RSRC2:TGID_Y_EN: 1
; COMPUTE_PGM_RSRC2:TGID_Z_EN: 1
; COMPUTE_PGM_RSRC2:TIDIG_COMP_CNT: 0
	.section	.text._ZL33flash_attn_stream_k_fixup_generalILi128ELi2ELi16EEvPfPK15HIP_vector_typeIfLj2EEiiiiS1_IjLj3EES5_S5_S5_,"axG",@progbits,_ZL33flash_attn_stream_k_fixup_generalILi128ELi2ELi16EEvPfPK15HIP_vector_typeIfLj2EEiiiiS1_IjLj3EES5_S5_S5_,comdat
	.globl	_ZL33flash_attn_stream_k_fixup_generalILi128ELi2ELi16EEvPfPK15HIP_vector_typeIfLj2EEiiiiS1_IjLj3EES5_S5_S5_ ; -- Begin function _ZL33flash_attn_stream_k_fixup_generalILi128ELi2ELi16EEvPfPK15HIP_vector_typeIfLj2EEiiiiS1_IjLj3EES5_S5_S5_
	.p2align	8
	.type	_ZL33flash_attn_stream_k_fixup_generalILi128ELi2ELi16EEvPfPK15HIP_vector_typeIfLj2EEiiiiS1_IjLj3EES5_S5_S5_,@function
_ZL33flash_attn_stream_k_fixup_generalILi128ELi2ELi16EEvPfPK15HIP_vector_typeIfLj2EEiiiiS1_IjLj3EES5_S5_S5_: ; @_ZL33flash_attn_stream_k_fixup_generalILi128ELi2ELi16EEvPfPK15HIP_vector_typeIfLj2EEiiiiS1_IjLj3EES5_S5_S5_
; %bb.0:
	s_clause 0x1
	s_load_b128 s[4:7], s[0:1], 0x10
	s_load_b32 s16, s[0:1], 0x50
	s_mov_b32 s2, ttmp9
	s_ashr_i32 s3, ttmp9, 31
	s_mov_b32 s17, 0
	s_delay_alu instid0(SALU_CYCLE_1) | instskip(SKIP_3) | instid1(SALU_CYCLE_1)
	s_mov_b32 s8, s17
	s_wait_kmcnt 0x0
	s_ashr_i32 s19, s7, 31
	s_mov_b32 s18, s7
	s_mul_u64 s[2:3], s[18:19], s[2:3]
	s_delay_alu instid0(SALU_CYCLE_1) | instskip(NEXT) | instid1(SALU_CYCLE_1)
	s_mov_b32 s9, s3
	s_cmp_lg_u64 s[8:9], 0
	s_cbranch_scc0 .LBB3_21
; %bb.1:
	s_add_nc_u64 s[8:9], s[16:17], 0
	s_mov_b32 s15, s17
	s_xor_b64 s[8:9], s[8:9], 0
	s_mov_b32 s23, s17
	s_cvt_f32_u32 s7, s8
	s_cvt_f32_u32 s10, s9
	s_sub_nc_u64 s[12:13], 0, s[8:9]
	s_delay_alu instid0(SALU_CYCLE_2) | instskip(NEXT) | instid1(SALU_CYCLE_3)
	s_fmamk_f32 s7, s10, 0x4f800000, s7
	v_s_rcp_f32 s7, s7
	s_delay_alu instid0(TRANS32_DEP_1) | instskip(SKIP_1) | instid1(SALU_CYCLE_2)
	s_mul_f32 s7, s7, 0x5f7ffffc
	s_wait_alu 0xfffe
	s_mul_f32 s10, s7, 0x2f800000
	s_delay_alu instid0(SALU_CYCLE_3) | instskip(NEXT) | instid1(SALU_CYCLE_3)
	s_trunc_f32 s10, s10
	s_fmamk_f32 s7, s10, 0xcf800000, s7
	s_cvt_u32_f32 s11, s10
	s_wait_alu 0xfffe
	s_delay_alu instid0(SALU_CYCLE_1) | instskip(NEXT) | instid1(SALU_CYCLE_3)
	s_cvt_u32_f32 s10, s7
	s_mul_u64 s[20:21], s[12:13], s[10:11]
	s_delay_alu instid0(SALU_CYCLE_1)
	s_mul_hi_u32 s25, s10, s21
	s_mul_i32 s24, s10, s21
	s_mul_hi_u32 s14, s10, s20
	s_mul_i32 s22, s11, s20
	s_add_nc_u64 s[14:15], s[14:15], s[24:25]
	s_mul_hi_u32 s7, s11, s20
	s_mul_hi_u32 s26, s11, s21
	s_add_co_u32 s14, s14, s22
	s_wait_alu 0xfffe
	s_add_co_ci_u32 s22, s15, s7
	s_mul_i32 s20, s11, s21
	s_add_co_ci_u32 s21, s26, 0
	s_delay_alu instid0(SALU_CYCLE_1)
	s_add_nc_u64 s[14:15], s[22:23], s[20:21]
	s_mov_b32 s21, s17
	s_add_co_u32 s10, s10, s14
	s_cselect_b32 s7, -1, 0
	s_wait_alu 0xfffe
	s_cmp_lg_u32 s7, 0
	s_add_co_ci_u32 s11, s11, s15
	s_mov_b32 s15, s17
	s_mul_u64 s[12:13], s[12:13], s[10:11]
	s_delay_alu instid0(SALU_CYCLE_1)
	s_mul_hi_u32 s23, s10, s13
	s_mul_i32 s22, s10, s13
	s_mul_hi_u32 s14, s10, s12
	s_mul_i32 s20, s11, s12
	s_add_nc_u64 s[14:15], s[14:15], s[22:23]
	s_mul_hi_u32 s7, s11, s12
	s_mul_hi_u32 s24, s11, s13
	s_mul_i32 s12, s11, s13
	s_add_co_u32 s13, s14, s20
	s_wait_alu 0xfffe
	s_add_co_ci_u32 s20, s15, s7
	s_add_co_ci_u32 s13, s24, 0
	s_mov_b32 s15, s17
	s_add_nc_u64 s[12:13], s[20:21], s[12:13]
	s_delay_alu instid0(SALU_CYCLE_1) | instskip(SKIP_1) | instid1(SALU_CYCLE_1)
	s_add_co_u32 s7, s10, s12
	s_cselect_b32 s10, -1, 0
	s_cmp_lg_u32 s10, 0
	s_add_co_ci_u32 s20, s11, s13
	s_ashr_i32 s10, s3, 31
	s_delay_alu instid0(SALU_CYCLE_1) | instskip(NEXT) | instid1(SALU_CYCLE_1)
	s_mov_b32 s11, s10
	s_add_nc_u64 s[12:13], s[2:3], s[10:11]
	s_delay_alu instid0(SALU_CYCLE_1) | instskip(NEXT) | instid1(SALU_CYCLE_1)
	s_xor_b64 s[12:13], s[12:13], s[10:11]
	s_mul_hi_u32 s23, s12, s20
	s_mul_i32 s22, s12, s20
	s_wait_alu 0xfffe
	s_mul_hi_u32 s14, s12, s7
	s_mul_hi_u32 s24, s13, s7
	s_mul_i32 s7, s13, s7
	s_add_nc_u64 s[14:15], s[14:15], s[22:23]
	s_mul_hi_u32 s3, s13, s20
	s_wait_alu 0xfffe
	s_add_co_u32 s7, s14, s7
	s_mul_i32 s22, s13, s20
	s_add_co_ci_u32 s20, s15, s24
	s_add_co_ci_u32 s23, s3, 0
	s_delay_alu instid0(SALU_CYCLE_1) | instskip(NEXT) | instid1(SALU_CYCLE_1)
	s_add_nc_u64 s[14:15], s[20:21], s[22:23]
	s_mul_u64 s[20:21], s[8:9], s[14:15]
	s_delay_alu instid0(SALU_CYCLE_1)
	s_sub_co_u32 s3, s12, s20
	s_cselect_b32 s7, -1, 0
	s_sub_co_i32 s12, s13, s21
	s_wait_alu 0xfffe
	s_cmp_lg_u32 s7, 0
	s_sub_co_ci_u32 s12, s12, s9
	s_sub_co_u32 s20, s3, s8
	s_cselect_b32 s22, -1, 0
	s_delay_alu instid0(SALU_CYCLE_1) | instskip(SKIP_2) | instid1(SALU_CYCLE_1)
	s_cmp_lg_u32 s22, 0
	s_add_nc_u64 s[22:23], s[14:15], 1
	s_sub_co_ci_u32 s12, s12, 0
	s_cmp_ge_u32 s12, s9
	s_cselect_b32 s24, -1, 0
	s_cmp_ge_u32 s20, s8
	s_cselect_b32 s20, -1, 0
	s_cmp_eq_u32 s12, s9
	s_cselect_b32 s12, s20, s24
	s_add_nc_u64 s[24:25], s[14:15], 2
	s_cmp_lg_u32 s12, 0
	s_cselect_b32 s12, s24, s22
	s_cselect_b32 s20, s25, s23
	s_cmp_lg_u32 s7, 0
	s_sub_co_ci_u32 s7, s13, s21
	s_wait_alu 0xfffe
	s_cmp_ge_u32 s7, s9
	s_cselect_b32 s13, -1, 0
	s_cmp_ge_u32 s3, s8
	s_cselect_b32 s3, -1, 0
	s_cmp_eq_u32 s7, s9
	s_cselect_b32 s3, s3, s13
	s_delay_alu instid0(SALU_CYCLE_1) | instskip(SKIP_4) | instid1(SALU_CYCLE_1)
	s_cmp_lg_u32 s3, 0
	s_mov_b32 s3, s17
	s_cselect_b32 s9, s20, s15
	s_cselect_b32 s8, s12, s14
	s_xor_b64 s[10:11], s[10:11], 0
	s_xor_b64 s[8:9], s[8:9], s[10:11]
	s_delay_alu instid0(SALU_CYCLE_1)
	s_sub_nc_u64 s[20:21], s[8:9], s[10:11]
	s_and_not1_b32 vcc_lo, exec_lo, s3
	s_cbranch_vccnz .LBB3_3
.LBB3_2:
	v_cvt_f32_u32_e32 v1, s16
	s_sub_co_i32 s7, 0, s16
	s_delay_alu instid0(VALU_DEP_1) | instskip(NEXT) | instid1(TRANS32_DEP_1)
	v_rcp_iflag_f32_e32 v1, v1
	v_mul_f32_e32 v1, 0x4f7ffffe, v1
	s_delay_alu instid0(VALU_DEP_1) | instskip(NEXT) | instid1(VALU_DEP_1)
	v_cvt_u32_f32_e32 v1, v1
	v_readfirstlane_b32 s3, v1
	s_wait_alu 0xfffe
	s_mul_i32 s7, s7, s3
	s_wait_alu 0xfffe
	s_mul_hi_u32 s7, s3, s7
	s_wait_alu 0xfffe
	s_add_co_i32 s3, s3, s7
	s_delay_alu instid0(SALU_CYCLE_1) | instskip(NEXT) | instid1(SALU_CYCLE_1)
	s_mul_hi_u32 s3, s2, s3
	s_mul_i32 s7, s3, s16
	s_wait_alu 0xfffe
	s_sub_co_i32 s2, s2, s7
	s_add_co_i32 s7, s3, 1
	s_sub_co_i32 s8, s2, s16
	s_cmp_ge_u32 s2, s16
	s_wait_alu 0xfffe
	s_cselect_b32 s3, s7, s3
	s_cselect_b32 s2, s8, s2
	s_add_co_i32 s7, s3, 1
	s_cmp_ge_u32 s2, s16
	s_wait_alu 0xfffe
	s_cselect_b32 s20, s7, s3
.LBB3_3:
	s_add_co_i32 s2, ttmp9, 1
	s_mov_b32 s8, 0
	s_ashr_i32 s3, s2, 31
	s_delay_alu instid0(SALU_CYCLE_1) | instskip(NEXT) | instid1(SALU_CYCLE_1)
	s_mul_u64 s[2:3], s[18:19], s[2:3]
	s_mov_b32 s9, s3
	s_delay_alu instid0(SALU_CYCLE_1)
	s_cmp_lg_u64 s[8:9], 0
	s_cbranch_scc0 .LBB3_22
; %bb.4:
	s_add_nc_u64 s[10:11], s[16:17], 0
	s_mov_b32 s23, s8
	s_xor_b64 s[10:11], s[10:11], 0
	s_mov_b32 s27, s8
	s_cvt_f32_u32 s7, s10
	s_cvt_f32_u32 s9, s11
	s_sub_nc_u64 s[14:15], 0, s[10:11]
	s_wait_alu 0xfffe
	s_delay_alu instid0(SALU_CYCLE_1) | instskip(SKIP_1) | instid1(SALU_CYCLE_2)
	s_fmamk_f32 s7, s9, 0x4f800000, s7
	s_wait_alu 0xfffe
	v_s_rcp_f32 s7, s7
	s_delay_alu instid0(TRANS32_DEP_1) | instskip(SKIP_1) | instid1(SALU_CYCLE_2)
	s_mul_f32 s7, s7, 0x5f7ffffc
	s_wait_alu 0xfffe
	s_mul_f32 s9, s7, 0x2f800000
	s_delay_alu instid0(SALU_CYCLE_3) | instskip(NEXT) | instid1(SALU_CYCLE_3)
	s_trunc_f32 s9, s9
	s_fmamk_f32 s7, s9, 0xcf800000, s7
	s_cvt_u32_f32 s13, s9
	s_wait_alu 0xfffe
	s_delay_alu instid0(SALU_CYCLE_1) | instskip(NEXT) | instid1(SALU_CYCLE_3)
	s_cvt_u32_f32 s12, s7
	s_mul_u64 s[24:25], s[14:15], s[12:13]
	s_delay_alu instid0(SALU_CYCLE_1)
	s_mul_hi_u32 s29, s12, s25
	s_mul_i32 s28, s12, s25
	s_mul_hi_u32 s22, s12, s24
	s_mul_i32 s9, s13, s24
	s_add_nc_u64 s[22:23], s[22:23], s[28:29]
	s_mul_hi_u32 s7, s13, s24
	s_mul_hi_u32 s21, s13, s25
	s_add_co_u32 s9, s22, s9
	s_wait_alu 0xfffe
	s_add_co_ci_u32 s26, s23, s7
	s_mul_i32 s24, s13, s25
	s_add_co_ci_u32 s25, s21, 0
	s_delay_alu instid0(SALU_CYCLE_1)
	s_add_nc_u64 s[22:23], s[26:27], s[24:25]
	s_mov_b32 s25, s8
	s_add_co_u32 s12, s12, s22
	s_cselect_b32 s7, -1, 0
	s_wait_alu 0xfffe
	s_cmp_lg_u32 s7, 0
	s_add_co_ci_u32 s13, s13, s23
	s_mov_b32 s23, s8
	s_mul_u64 s[14:15], s[14:15], s[12:13]
	s_delay_alu instid0(SALU_CYCLE_1)
	s_mul_hi_u32 s27, s12, s15
	s_mul_i32 s26, s12, s15
	s_mul_hi_u32 s22, s12, s14
	s_mul_i32 s9, s13, s14
	s_add_nc_u64 s[22:23], s[22:23], s[26:27]
	s_mul_hi_u32 s7, s13, s14
	s_mul_hi_u32 s21, s13, s15
	s_add_co_u32 s9, s22, s9
	s_wait_alu 0xfffe
	s_add_co_ci_u32 s24, s23, s7
	s_mul_i32 s14, s13, s15
	s_add_co_ci_u32 s15, s21, 0
	s_mov_b32 s23, s8
	s_add_nc_u64 s[14:15], s[24:25], s[14:15]
	s_delay_alu instid0(SALU_CYCLE_1) | instskip(SKIP_1) | instid1(SALU_CYCLE_1)
	s_add_co_u32 s7, s12, s14
	s_cselect_b32 s9, -1, 0
	s_cmp_lg_u32 s9, 0
	s_add_co_ci_u32 s9, s13, s15
	s_ashr_i32 s12, s3, 31
	s_delay_alu instid0(SALU_CYCLE_1) | instskip(NEXT) | instid1(SALU_CYCLE_1)
	s_mov_b32 s13, s12
	s_add_nc_u64 s[14:15], s[2:3], s[12:13]
	s_delay_alu instid0(SALU_CYCLE_1) | instskip(NEXT) | instid1(SALU_CYCLE_1)
	s_xor_b64 s[14:15], s[14:15], s[12:13]
	s_mul_hi_u32 s27, s14, s9
	s_mul_i32 s26, s14, s9
	s_wait_alu 0xfffe
	s_mul_hi_u32 s22, s14, s7
	s_mul_hi_u32 s21, s15, s7
	s_mul_i32 s7, s15, s7
	s_add_nc_u64 s[22:23], s[22:23], s[26:27]
	s_mul_hi_u32 s3, s15, s9
	s_wait_alu 0xfffe
	s_add_co_u32 s7, s22, s7
	s_add_co_ci_u32 s24, s23, s21
	s_mul_i32 s26, s15, s9
	s_add_co_ci_u32 s27, s3, 0
	s_delay_alu instid0(SALU_CYCLE_1) | instskip(NEXT) | instid1(SALU_CYCLE_1)
	s_add_nc_u64 s[22:23], s[24:25], s[26:27]
	s_mul_u64 s[24:25], s[10:11], s[22:23]
	s_add_nc_u64 s[26:27], s[22:23], 1
	s_sub_co_u32 s3, s14, s24
	s_cselect_b32 s7, -1, 0
	s_sub_co_i32 s9, s15, s25
	s_wait_alu 0xfffe
	s_cmp_lg_u32 s7, 0
	s_add_nc_u64 s[28:29], s[22:23], 2
	s_sub_co_ci_u32 s9, s9, s11
	s_sub_co_u32 s14, s3, s10
	s_cselect_b32 s21, -1, 0
	s_delay_alu instid0(SALU_CYCLE_1) | instskip(SKIP_1) | instid1(SALU_CYCLE_1)
	s_cmp_lg_u32 s21, 0
	s_sub_co_ci_u32 s9, s9, 0
	s_cmp_ge_u32 s9, s11
	s_cselect_b32 s21, -1, 0
	s_cmp_ge_u32 s14, s10
	s_cselect_b32 s14, -1, 0
	s_cmp_eq_u32 s9, s11
	s_cselect_b32 s9, s14, s21
	s_delay_alu instid0(SALU_CYCLE_1)
	s_cmp_lg_u32 s9, 0
	s_cselect_b32 s9, s28, s26
	s_cselect_b32 s14, s29, s27
	s_cmp_lg_u32 s7, 0
	s_sub_co_ci_u32 s7, s15, s25
	s_wait_alu 0xfffe
	s_cmp_ge_u32 s7, s11
	s_cselect_b32 s15, -1, 0
	s_cmp_ge_u32 s3, s10
	s_cselect_b32 s3, -1, 0
	s_cmp_eq_u32 s7, s11
	s_cselect_b32 s3, s3, s15
	s_delay_alu instid0(SALU_CYCLE_1) | instskip(SKIP_3) | instid1(SALU_CYCLE_1)
	s_cmp_lg_u32 s3, 0
	s_cselect_b32 s11, s14, s23
	s_cselect_b32 s10, s9, s22
	s_xor_b64 s[12:13], s[12:13], 0
	s_xor_b64 s[10:11], s[10:11], s[12:13]
	s_delay_alu instid0(SALU_CYCLE_1)
	s_sub_nc_u64 s[10:11], s[10:11], s[12:13]
	s_load_b96 s[12:14], s[0:1], 0x44
	s_and_not1_b32 vcc_lo, exec_lo, s8
	s_cbranch_vccnz .LBB3_6
.LBB3_5:
	v_cvt_f32_u32_e32 v1, s16
	s_sub_co_i32 s7, 0, s16
	s_delay_alu instid0(VALU_DEP_1) | instskip(NEXT) | instid1(TRANS32_DEP_1)
	v_rcp_iflag_f32_e32 v1, v1
	v_mul_f32_e32 v1, 0x4f7ffffe, v1
	s_delay_alu instid0(VALU_DEP_1) | instskip(NEXT) | instid1(VALU_DEP_1)
	v_cvt_u32_f32_e32 v1, v1
	v_readfirstlane_b32 s3, v1
	s_wait_alu 0xfffe
	s_mul_i32 s7, s7, s3
	s_wait_alu 0xfffe
	s_mul_hi_u32 s7, s3, s7
	s_wait_alu 0xfffe
	s_add_co_i32 s3, s3, s7
	s_delay_alu instid0(SALU_CYCLE_1) | instskip(NEXT) | instid1(SALU_CYCLE_1)
	s_mul_hi_u32 s3, s2, s3
	s_mul_i32 s7, s3, s16
	s_wait_alu 0xfffe
	s_sub_co_i32 s2, s2, s7
	s_add_co_i32 s7, s3, 1
	s_sub_co_i32 s8, s2, s16
	s_cmp_ge_u32 s2, s16
	s_wait_alu 0xfffe
	s_cselect_b32 s3, s7, s3
	s_cselect_b32 s2, s8, s2
	s_add_co_i32 s7, s3, 1
	s_cmp_ge_u32 s2, s16
	s_wait_alu 0xfffe
	s_cselect_b32 s10, s7, s3
.LBB3_6:
	s_mov_b32 s21, 0
	s_wait_kmcnt 0x0
	s_mov_b32 s22, s12
	s_mov_b32 s23, s21
	s_cmp_eq_u32 s20, s10
	s_mul_u64 s[2:3], s[20:21], s[22:23]
	s_cselect_b32 s7, -1, 0
	s_add_co_i32 s2, s3, s20
	s_mov_b32 s11, s21
	s_lshr_b32 s12, s2, s13
	s_mul_u64 s[2:3], s[10:11], s[22:23]
	s_mul_i32 s2, s12, s14
	s_delay_alu instid0(SALU_CYCLE_1) | instskip(SKIP_2) | instid1(SALU_CYCLE_1)
	s_cmp_eq_u32 s2, s20
	s_cselect_b32 s2, -1, 0
	s_add_co_i32 s3, s3, s10
	s_lshr_b32 s3, s3, s13
	s_delay_alu instid0(SALU_CYCLE_1)
	s_cmp_eq_u32 s12, s3
	s_mul_i32 s3, s3, s14
	s_cselect_b32 s8, -1, 0
	s_cmp_lg_u32 s3, s10
	s_cselect_b32 s3, -1, 0
	s_wait_alu 0xfffe
	s_or_b32 s2, s7, s2
	s_and_b32 s3, s8, s3
	s_delay_alu instid0(SALU_CYCLE_1) | instskip(NEXT) | instid1(SALU_CYCLE_1)
	s_or_b32 s2, s2, s3
	s_and_b32 vcc_lo, exec_lo, s2
	s_cbranch_vccnz .LBB3_24
; %bb.7:
	s_load_b256 s[24:31], s[0:1], 0x20
	s_mov_b32 s3, s21
	s_wait_kmcnt 0x0
	s_mov_b32 s2, s24
	s_delay_alu instid0(SALU_CYCLE_1) | instskip(NEXT) | instid1(SALU_CYCLE_1)
	s_mul_u64 s[2:3], s[20:21], s[2:3]
	s_add_co_i32 s2, s3, s20
	s_delay_alu instid0(SALU_CYCLE_1) | instskip(SKIP_2) | instid1(SALU_CYCLE_1)
	s_lshr_b32 s7, s2, s25
	s_load_b32 s2, s[0:1], 0x40
	s_mul_i32 s3, s7, s26
	s_sub_co_i32 s3, s20, s3
	s_delay_alu instid0(SALU_CYCLE_1) | instskip(NEXT) | instid1(SALU_CYCLE_1)
	s_mul_hi_u32 s8, s3, s27
	s_add_co_i32 s8, s3, s8
	s_delay_alu instid0(SALU_CYCLE_1) | instskip(NEXT) | instid1(SALU_CYCLE_1)
	s_lshr_b32 s8, s8, s28
	s_mul_i32 s9, s8, s29
	s_delay_alu instid0(SALU_CYCLE_1) | instskip(NEXT) | instid1(SALU_CYCLE_1)
	s_sub_co_i32 s9, s3, s9
	s_mul_hi_u32 s3, s9, s30
	s_delay_alu instid0(SALU_CYCLE_1) | instskip(NEXT) | instid1(SALU_CYCLE_1)
	s_add_co_i32 s3, s9, s3
	s_lshr_b32 s24, s3, s31
	s_mov_b32 s3, s21
	s_wait_kmcnt 0x0
	s_mul_i32 s2, s24, s2
	s_lshl_b32 s21, s24, 4
	s_sub_co_i32 s2, s9, s2
	s_delay_alu instid0(SALU_CYCLE_1) | instskip(SKIP_2) | instid1(SALU_CYCLE_1)
	s_mul_u64 s[10:11], s[2:3], s[22:23]
	s_lshr_b32 s3, ttmp7, 16
	s_add_co_i32 s2, s2, s11
	s_lshr_b32 s15, s2, s13
	s_and_b32 s2, ttmp7, 0xffff
	s_lshl_b32 s9, s15, 1
	s_delay_alu instid0(SALU_CYCLE_1) | instskip(NEXT) | instid1(SALU_CYCLE_1)
	s_add_co_i32 s9, s9, s2
	s_cmp_lt_i32 s9, s4
	s_cselect_b32 s9, -1, 0
	s_add_co_i32 s10, s21, s3
	s_delay_alu instid0(SALU_CYCLE_1) | instskip(SKIP_1) | instid1(SALU_CYCLE_1)
	s_cmp_lt_i32 s10, s6
	s_cselect_b32 s10, -1, 0
	s_and_b32 s9, s9, s10
	s_delay_alu instid0(SALU_CYCLE_1)
	s_and_not1_b32 vcc_lo, exec_lo, s9
	s_cbranch_vccnz .LBB3_24
; %bb.8:
	s_mul_i32 s4, s7, s4
	s_mul_i32 s6, s8, s6
	s_add_co_i32 s4, s4, s2
	s_load_b128 s[8:11], s[0:1], 0x0
	s_mul_i32 s4, s4, s5
	s_mul_i32 s1, s5, s15
	s_add_co_i32 s4, s4, s3
	s_lshl_b32 s1, s1, 8
	s_add_co_i32 s0, s4, s6
	s_lshl_b32 s15, s2, 4
	s_add_co_i32 s0, s0, s21
	s_add_co_i32 s15, s15, s3
	s_lshl_b32 s0, s0, 7
	v_cvt_f32_u32_e32 v4, s16
	s_add_co_i32 s1, s1, s0
	s_add_co_i32 s34, ttmp9, -1
	v_or_b32_e32 v1, s1, v0
	s_add_nc_u64 s[0:1], s[16:17], 0
	v_rcp_iflag_f32_e32 v4, v4
	s_wait_alu 0xfffe
	s_xor_b64 s[6:7], s[0:1], 0
	s_lshl_b32 s0, ttmp9, 5
	v_ashrrev_i32_e32 v2, 31, v1
	s_wait_alu 0xfffe
	s_cvt_f32_u32 s1, s6
	s_cvt_f32_u32 s2, s7
	s_add_co_i32 s0, s15, s0
	v_lshl_or_b32 v0, s15, 7, v0
	v_lshlrev_b64_e32 v[1:2], 2, v[1:2]
	s_wait_alu 0xfffe
	s_fmamk_f32 s2, s2, 0x4f800000, s1
	s_ashr_i32 s1, s0, 31
	s_sub_nc_u64 s[30:31], 0, s[6:7]
	s_wait_alu 0xfffe
	s_lshl_b64 s[0:1], s[0:1], 3
	v_s_rcp_f32 s2, s2
	s_wait_kmcnt 0x0
	v_add_co_u32 v1, vcc_lo, s8, v1
	s_delay_alu instid0(VALU_DEP_1)
	v_add_co_ci_u32_e64 v2, null, s9, v2, vcc_lo
	s_wait_alu 0xfffe
	s_add_nc_u64 s[0:1], s[10:11], s[0:1]
	s_mov_b32 s8, 0
	s_load_b64 s[26:27], s[0:1], 0x0
	global_load_b32 v3, v[1:2], off
	s_mul_f32 s2, s2, 0x5f7ffffc
	v_mul_f32_e32 v4, 0x4f7ffffe, v4
	s_lshl_b32 s0, s16, 7
	s_wait_alu 0xfffe
	s_mul_f32 s1, s2, 0x2f800000
	s_wait_alu 0xfffe
	s_delay_alu instid0(SALU_CYCLE_2)
	s_trunc_f32 s3, s1
	s_mov_b32 s1, s8
	s_wait_alu 0xfffe
	s_lshl_b64 s[0:1], s[0:1], 2
	s_fmamk_f32 s2, s3, 0xcf800000, s2
	s_cvt_u32_f32 s29, s3
	s_wait_alu 0xfffe
	s_add_nc_u64 s[24:25], s[10:11], s[0:1]
	s_cvt_u32_f32 s28, s2
	s_wait_kmcnt 0x0
	v_mov_b32_e32 v5, s27
	v_cvt_u32_f32_e32 v4, v4
.LBB3_9:                                ; =>This Inner Loop Header: Depth=1
	s_wait_alu 0xfffe
	s_ashr_i32 s35, s34, 31
	s_mov_b32 s2, -1
	s_wait_alu 0xfffe
	s_mul_u64 s[0:1], s[34:35], s[18:19]
                                        ; implicit-def: $sgpr38_sgpr39
	s_wait_alu 0xfffe
	s_mov_b32 s9, s1
	s_wait_alu 0xfffe
	s_cmp_lg_u64 s[8:9], 0
	s_cbranch_scc0 .LBB3_11
; %bb.10:                               ;   in Loop: Header=BB3_9 Depth=1
	s_mul_u64 s[2:3], s[30:31], s[28:29]
	s_mov_b32 s37, s8
	s_wait_alu 0xfffe
	s_mul_hi_u32 s5, s28, s3
	s_mul_i32 s4, s28, s3
	s_mul_hi_u32 s36, s28, s2
	s_mul_hi_u32 s9, s29, s2
	s_wait_alu 0xfffe
	s_add_nc_u64 s[4:5], s[36:37], s[4:5]
	s_mul_i32 s2, s29, s2
	s_mul_hi_u32 s17, s29, s3
	s_wait_alu 0xfffe
	s_add_co_u32 s2, s4, s2
	s_add_co_ci_u32 s2, s5, s9
	s_add_co_ci_u32 s5, s17, 0
	s_mul_i32 s4, s29, s3
	s_mov_b32 s3, s8
	s_mov_b32 s39, s8
	s_wait_alu 0xfffe
	s_add_nc_u64 s[2:3], s[2:3], s[4:5]
	s_wait_alu 0xfffe
	s_add_co_u32 s2, s28, s2
	s_cselect_b32 s4, -1, 0
	s_wait_alu 0xfffe
	s_cmp_lg_u32 s4, 0
	s_add_co_ci_u32 s3, s29, s3
	s_wait_alu 0xfffe
	s_mul_u64 s[4:5], s[30:31], s[2:3]
	s_wait_alu 0xfffe
	s_mul_hi_u32 s37, s2, s5
	s_mul_i32 s36, s2, s5
	s_mul_hi_u32 s38, s2, s4
	s_mul_hi_u32 s9, s3, s4
	s_mul_i32 s4, s3, s4
	s_wait_alu 0xfffe
	s_add_nc_u64 s[36:37], s[38:39], s[36:37]
	s_mul_hi_u32 s17, s3, s5
	s_wait_alu 0xfffe
	s_add_co_u32 s4, s36, s4
	s_add_co_ci_u32 s4, s37, s9
	s_add_co_ci_u32 s37, s17, 0
	s_mul_i32 s36, s3, s5
	s_mov_b32 s5, s8
	s_wait_alu 0xfffe
	s_add_nc_u64 s[4:5], s[4:5], s[36:37]
	s_mov_b32 s37, s8
	s_wait_alu 0xfffe
	s_add_co_u32 s9, s2, s4
	s_cselect_b32 s2, -1, 0
	s_wait_alu 0xfffe
	s_cmp_lg_u32 s2, 0
	s_add_co_ci_u32 s17, s3, s5
	s_ashr_i32 s2, s1, 31
	s_wait_alu 0xfffe
	s_mov_b32 s3, s2
	s_wait_alu 0xfffe
	s_add_nc_u64 s[4:5], s[0:1], s[2:3]
	s_wait_alu 0xfffe
	s_xor_b64 s[4:5], s[4:5], s[2:3]
	s_wait_alu 0xfffe
	s_mul_hi_u32 s39, s4, s17
	s_mul_i32 s38, s4, s17
	s_mul_hi_u32 s36, s4, s9
	s_mul_i32 s21, s5, s9
	s_wait_alu 0xfffe
	s_add_nc_u64 s[36:37], s[36:37], s[38:39]
	s_mul_hi_u32 s9, s5, s9
	s_mul_hi_u32 s1, s5, s17
	s_wait_alu 0xfffe
	s_add_co_u32 s21, s36, s21
	s_add_co_ci_u32 s36, s37, s9
	s_add_co_ci_u32 s39, s1, 0
	s_mul_i32 s38, s5, s17
	s_mov_b32 s37, s8
	s_wait_alu 0xfffe
	s_add_nc_u64 s[36:37], s[36:37], s[38:39]
	s_wait_alu 0xfffe
	s_mul_u64 s[38:39], s[6:7], s[36:37]
	s_add_nc_u64 s[40:41], s[36:37], 1
	s_sub_co_u32 s1, s4, s38
	s_cselect_b32 s4, -1, 0
	s_sub_co_i32 s9, s5, s39
	s_wait_alu 0xfffe
	s_cmp_lg_u32 s4, 0
	s_add_nc_u64 s[42:43], s[36:37], 2
	s_sub_co_ci_u32 s9, s9, s7
	s_sub_co_u32 s17, s1, s6
	s_cselect_b32 s21, -1, 0
	s_delay_alu instid0(SALU_CYCLE_1)
	s_cmp_lg_u32 s21, 0
	s_wait_alu 0xfffe
	s_sub_co_ci_u32 s9, s9, 0
	s_wait_alu 0xfffe
	s_cmp_ge_u32 s9, s7
	s_cselect_b32 s21, -1, 0
	s_cmp_ge_u32 s17, s6
	s_cselect_b32 s17, -1, 0
	s_cmp_eq_u32 s9, s7
	s_wait_alu 0xfffe
	s_cselect_b32 s9, s17, s21
	s_wait_alu 0xfffe
	s_cmp_lg_u32 s9, 0
	s_cselect_b32 s9, s42, s40
	s_cselect_b32 s17, s43, s41
	s_cmp_lg_u32 s4, 0
	s_sub_co_ci_u32 s4, s5, s39
	s_wait_alu 0xfffe
	s_cmp_ge_u32 s4, s7
	s_cselect_b32 s5, -1, 0
	s_cmp_ge_u32 s1, s6
	s_cselect_b32 s1, -1, 0
	s_cmp_eq_u32 s4, s7
	s_wait_alu 0xfffe
	s_cselect_b32 s1, s1, s5
	s_wait_alu 0xfffe
	s_cmp_lg_u32 s1, 0
	s_cselect_b32 s5, s17, s37
	s_cselect_b32 s4, s9, s36
	s_xor_b64 s[2:3], s[2:3], 0
	s_wait_alu 0xfffe
	s_xor_b64 s[4:5], s[4:5], s[2:3]
	s_wait_alu 0xfffe
	s_sub_nc_u64 s[38:39], s[4:5], s[2:3]
	s_mov_b32 s2, 0
.LBB3_11:                               ;   in Loop: Header=BB3_9 Depth=1
	s_wait_alu 0xfffe
	s_and_not1_b32 vcc_lo, exec_lo, s2
	s_wait_alu 0xfffe
	s_cbranch_vccnz .LBB3_13
; %bb.12:                               ;   in Loop: Header=BB3_9 Depth=1
	v_readfirstlane_b32 s1, v4
	s_sub_co_i32 s2, 0, s16
	s_wait_alu 0xfffe
	s_mul_i32 s2, s2, s1
	s_wait_alu 0xfffe
	s_mul_hi_u32 s2, s1, s2
	s_wait_alu 0xfffe
	s_add_co_i32 s1, s1, s2
	s_wait_alu 0xfffe
	s_mul_hi_u32 s1, s0, s1
	s_wait_alu 0xfffe
	s_mul_i32 s2, s1, s16
	s_wait_alu 0xfffe
	s_sub_co_i32 s0, s0, s2
	s_add_co_i32 s2, s1, 1
	s_wait_alu 0xfffe
	s_sub_co_i32 s3, s0, s16
	s_cmp_ge_u32 s0, s16
	s_cselect_b32 s1, s2, s1
	s_wait_alu 0xfffe
	s_cselect_b32 s0, s3, s0
	s_add_co_i32 s2, s1, 1
	s_wait_alu 0xfffe
	s_cmp_ge_u32 s0, s16
	s_cselect_b32 s38, s2, s1
.LBB3_13:                               ;   in Loop: Header=BB3_9 Depth=1
	v_readfirstlane_b32 s9, v0
	s_cmp_lg_u32 s20, s38
	s_mov_b32 s0, -1
                                        ; implicit-def: $sgpr21
                                        ; implicit-def: $vgpr6
                                        ; implicit-def: $vgpr7
                                        ; implicit-def: $sgpr17
                                        ; implicit-def: $sgpr27
	s_cbranch_scc1 .LBB3_16
; %bb.14:                               ;   in Loop: Header=BB3_9 Depth=1
	s_wait_alu 0xfffe
	s_and_not1_b32 vcc_lo, exec_lo, s0
	s_wait_alu 0xfffe
	s_cbranch_vccz .LBB3_19
.LBB3_15:                               ;   in Loop: Header=BB3_9 Depth=1
	s_and_not1_b32 vcc_lo, exec_lo, s21
	s_wait_alu 0xfffe
	s_cbranch_vccnz .LBB3_20
	s_branch .LBB3_23
.LBB3_16:                               ;   in Loop: Header=BB3_9 Depth=1
	s_add_co_i32 s0, s34, s16
	s_mov_b32 s1, s8
	s_wait_alu 0xfffe
	s_lshl_b32 s0, s0, 5
	v_max_num_f32_e64 v6, s26, s26
	s_wait_alu 0xfffe
	s_add_co_i32 s0, s0, s15
	s_mov_b32 s39, s8
	s_wait_alu 0xfffe
	s_lshl_b64 s[0:1], s[0:1], 3
	s_mul_u64 s[40:41], s[38:39], s[22:23]
	s_wait_alu 0xfffe
	s_add_nc_u64 s[0:1], s[10:11], s[0:1]
	s_mov_b32 s27, s20
	s_load_b64 s[36:37], s[0:1], 0x0
	v_readfirstlane_b32 s0, v6
	s_wait_kmcnt 0x0
	v_max_num_f32_e64 v7, s36, s36
	s_delay_alu instid0(VALU_DEP_1) | instskip(SKIP_2) | instid1(SALU_CYCLE_2)
	v_readfirstlane_b32 s1, v7
	s_max_num_f32 s9, s0, s1
	s_wait_alu 0xfffe
	s_sub_f32 s33, s26, s9
	s_sub_f32 s35, s36, s9
	s_wait_alu 0xfffe
	s_delay_alu instid0(SALU_CYCLE_1)
	s_cmp_nlt_f32 s33, 0xc2ce8ed0
	s_cselect_b32 s0, -1, 0
	s_cmp_ngt_f32 s33, 0x42b17218
	s_cselect_b32 s1, -1, 0
	s_cmp_ge_f32 s33, 0xc1a00000
	s_cselect_b32 s2, -1, 0
	s_cmp_nlt_f32 s35, 0xc2ce8ed0
	s_cselect_b32 s3, -1, 0
	s_cmp_ngt_f32 s35, 0x42b17218
	s_cselect_b32 s4, -1, 0
	s_cmp_ge_f32 s35, 0xc1a00000
	s_cselect_b32 s5, -1, 0
	s_add_co_i32 s17, s41, s38
	s_wait_alu 0xfffe
	s_lshr_b32 s17, s17, s13
	s_wait_alu 0xfffe
	s_mul_i32 s21, s17, s14
	s_delay_alu instid0(SALU_CYCLE_1)
	s_cmp_eq_u32 s21, s38
	s_cselect_b32 s21, -1, 0
	s_cmp_lt_u32 s17, s12
	s_cselect_b32 s17, -1, 0
	s_wait_alu 0xfffe
	s_or_b32 s17, s17, s21
	s_mov_b32 s21, -1
	s_wait_alu 0xfffe
	s_and_b32 vcc_lo, exec_lo, s17
	s_mov_b32 s17, s34
	s_wait_alu 0xfffe
	s_cbranch_vccnz .LBB3_18
; %bb.17:                               ;   in Loop: Header=BB3_9 Depth=1
	s_add_co_i32 s17, s34, -1
	s_mov_b32 s21, 0
	s_mov_b32 s27, s38
.LBB3_18:                               ;   in Loop: Header=BB3_9 Depth=1
	v_lshl_add_u32 v6, s34, 12, v0
	s_mul_f32 s36, s35, 0x3fb8aa3b
	s_mul_f32 s38, s33, 0x3fb8aa3b
	s_wait_alu 0xfffe
	s_delay_alu instid0(SALU_CYCLE_1)
	s_xor_b32 s39, s36, 0x80000000
	v_ashrrev_i32_e32 v7, 31, v6
	s_rndne_f32 s40, s36
	s_fmamk_f32 s39, s35, 0x3fb8aa3b, s39
	s_xor_b32 s41, s38, 0x80000000
	s_rndne_f32 s42, s38
	v_lshlrev_b64_e32 v[6:7], 2, v[6:7]
	s_sub_f32 s36, s36, s40
	s_fmamk_f32 s35, s35, 0x32a5705f, s39
	s_fmamk_f32 s39, s33, 0x3fb8aa3b, s41
	s_sub_f32 s38, s38, s42
	s_delay_alu instid0(VALU_DEP_1)
	v_add_co_u32 v6, vcc_lo, s24, v6
	s_wait_alu 0xfffd
	v_add_co_ci_u32_e64 v7, null, s25, v7, vcc_lo
	s_wait_alu 0xfffe
	s_add_f32 s35, s36, s35
	s_fmamk_f32 s33, s33, 0x32a5705f, s39
	s_cvt_i32_f32 s36, s40
	global_load_b32 v6, v[6:7], off
	s_wait_alu 0xfffe
	v_s_exp_f32 s35, s35
	s_add_f32 s33, s38, s33
	s_wait_alu 0xfffe
	s_delay_alu instid0(SALU_CYCLE_2) | instskip(NEXT) | instid1(TRANS32_DEP_2)
	v_s_exp_f32 s33, s33
	v_ldexp_f32 v7, s35, s36
	s_cvt_i32_f32 s35, s42
	s_wait_alu 0xf1fe
	s_delay_alu instid0(TRANS32_DEP_1) | instid1(SALU_CYCLE_2)
	v_ldexp_f32 v8, s33, s35
	s_delay_alu instid0(VALU_DEP_2) | instskip(NEXT) | instid1(VALU_DEP_2)
	v_cndmask_b32_e64 v7, 0, v7, s3
	v_cndmask_b32_e64 v8, 0, v8, s0
	s_delay_alu instid0(VALU_DEP_2) | instskip(NEXT) | instid1(VALU_DEP_2)
	v_cndmask_b32_e64 v7, 0x7f800000, v7, s4
	v_cndmask_b32_e64 v8, 0x7f800000, v8, s1
	;; [unrolled: 3-line block ×3, first 2 shown]
	s_wait_loadcnt 0x0
	s_delay_alu instid0(VALU_DEP_2) | instskip(SKIP_1) | instid1(VALU_DEP_1)
	v_mul_f32_e32 v6, v6, v7
	v_mul_f32_e32 v7, s37, v7
	v_fmac_f32_e32 v7, v5, v8
	s_delay_alu instid0(VALU_DEP_3)
	v_fmac_f32_e32 v6, v3, v8
	s_cbranch_execnz .LBB3_15
.LBB3_19:                               ;   in Loop: Header=BB3_9 Depth=1
	s_wait_loadcnt 0x0
	v_dual_mov_b32 v7, v5 :: v_dual_mov_b32 v6, v3
	s_add_co_i32 s17, s34, -1
	s_mov_b32 s27, s20
	s_mov_b32 s9, s26
	s_cbranch_execz .LBB3_23
.LBB3_20:                               ;   in Loop: Header=BB3_9 Depth=1
	v_mov_b32_e32 v5, v7
	s_wait_loadcnt 0x0
	v_mov_b32_e32 v3, v6
	s_wait_alu 0xfffe
	s_mov_b32 s20, s27
	s_mov_b32 s34, s17
	;; [unrolled: 1-line block ×3, first 2 shown]
	s_branch .LBB3_9
.LBB3_21:
                                        ; implicit-def: $sgpr20_sgpr21
	s_branch .LBB3_2
.LBB3_22:
                                        ; implicit-def: $sgpr10_sgpr11
	s_load_b96 s[12:14], s[0:1], 0x44
	s_branch .LBB3_5
.LBB3_23:
	v_div_scale_f32 v0, null, v7, v7, v6
	s_wait_loadcnt 0x0
	s_delay_alu instid0(VALU_DEP_1) | instskip(NEXT) | instid1(TRANS32_DEP_1)
	v_rcp_f32_e32 v3, v0
	v_fma_f32 v4, -v0, v3, 1.0
	s_delay_alu instid0(VALU_DEP_1) | instskip(SKIP_1) | instid1(VALU_DEP_1)
	v_fmac_f32_e32 v3, v4, v3
	v_div_scale_f32 v4, vcc_lo, v6, v7, v6
	v_mul_f32_e32 v5, v4, v3
	s_delay_alu instid0(VALU_DEP_1) | instskip(NEXT) | instid1(VALU_DEP_1)
	v_fma_f32 v8, -v0, v5, v4
	v_fmac_f32_e32 v5, v8, v3
	s_delay_alu instid0(VALU_DEP_1) | instskip(SKIP_1) | instid1(VALU_DEP_1)
	v_fma_f32 v0, -v0, v5, v4
	s_wait_alu 0xfffd
	v_div_fmas_f32 v0, v0, v3, v5
	s_delay_alu instid0(VALU_DEP_1)
	v_div_fixup_f32 v0, v0, v7, v6
	global_store_b32 v[1:2], v0, off
.LBB3_24:
	s_endpgm
	.section	.rodata,"a",@progbits
	.p2align	6, 0x0
	.amdhsa_kernel _ZL33flash_attn_stream_k_fixup_generalILi128ELi2ELi16EEvPfPK15HIP_vector_typeIfLj2EEiiiiS1_IjLj3EES5_S5_S5_
		.amdhsa_group_segment_fixed_size 0
		.amdhsa_private_segment_fixed_size 0
		.amdhsa_kernarg_size 336
		.amdhsa_user_sgpr_count 2
		.amdhsa_user_sgpr_dispatch_ptr 0
		.amdhsa_user_sgpr_queue_ptr 0
		.amdhsa_user_sgpr_kernarg_segment_ptr 1
		.amdhsa_user_sgpr_dispatch_id 0
		.amdhsa_user_sgpr_private_segment_size 0
		.amdhsa_wavefront_size32 1
		.amdhsa_uses_dynamic_stack 0
		.amdhsa_enable_private_segment 0
		.amdhsa_system_sgpr_workgroup_id_x 1
		.amdhsa_system_sgpr_workgroup_id_y 1
		.amdhsa_system_sgpr_workgroup_id_z 1
		.amdhsa_system_sgpr_workgroup_info 0
		.amdhsa_system_vgpr_workitem_id 0
		.amdhsa_next_free_vgpr 9
		.amdhsa_next_free_sgpr 44
		.amdhsa_reserve_vcc 1
		.amdhsa_float_round_mode_32 0
		.amdhsa_float_round_mode_16_64 0
		.amdhsa_float_denorm_mode_32 3
		.amdhsa_float_denorm_mode_16_64 3
		.amdhsa_fp16_overflow 0
		.amdhsa_workgroup_processor_mode 1
		.amdhsa_memory_ordered 1
		.amdhsa_forward_progress 1
		.amdhsa_inst_pref_size 28
		.amdhsa_round_robin_scheduling 0
		.amdhsa_exception_fp_ieee_invalid_op 0
		.amdhsa_exception_fp_denorm_src 0
		.amdhsa_exception_fp_ieee_div_zero 0
		.amdhsa_exception_fp_ieee_overflow 0
		.amdhsa_exception_fp_ieee_underflow 0
		.amdhsa_exception_fp_ieee_inexact 0
		.amdhsa_exception_int_div_zero 0
	.end_amdhsa_kernel
	.section	.text._ZL33flash_attn_stream_k_fixup_generalILi128ELi2ELi16EEvPfPK15HIP_vector_typeIfLj2EEiiiiS1_IjLj3EES5_S5_S5_,"axG",@progbits,_ZL33flash_attn_stream_k_fixup_generalILi128ELi2ELi16EEvPfPK15HIP_vector_typeIfLj2EEiiiiS1_IjLj3EES5_S5_S5_,comdat
.Lfunc_end3:
	.size	_ZL33flash_attn_stream_k_fixup_generalILi128ELi2ELi16EEvPfPK15HIP_vector_typeIfLj2EEiiiiS1_IjLj3EES5_S5_S5_, .Lfunc_end3-_ZL33flash_attn_stream_k_fixup_generalILi128ELi2ELi16EEvPfPK15HIP_vector_typeIfLj2EEiiiiS1_IjLj3EES5_S5_S5_
                                        ; -- End function
	.set _ZL33flash_attn_stream_k_fixup_generalILi128ELi2ELi16EEvPfPK15HIP_vector_typeIfLj2EEiiiiS1_IjLj3EES5_S5_S5_.num_vgpr, 9
	.set _ZL33flash_attn_stream_k_fixup_generalILi128ELi2ELi16EEvPfPK15HIP_vector_typeIfLj2EEiiiiS1_IjLj3EES5_S5_S5_.num_agpr, 0
	.set _ZL33flash_attn_stream_k_fixup_generalILi128ELi2ELi16EEvPfPK15HIP_vector_typeIfLj2EEiiiiS1_IjLj3EES5_S5_S5_.numbered_sgpr, 44
	.set _ZL33flash_attn_stream_k_fixup_generalILi128ELi2ELi16EEvPfPK15HIP_vector_typeIfLj2EEiiiiS1_IjLj3EES5_S5_S5_.num_named_barrier, 0
	.set _ZL33flash_attn_stream_k_fixup_generalILi128ELi2ELi16EEvPfPK15HIP_vector_typeIfLj2EEiiiiS1_IjLj3EES5_S5_S5_.private_seg_size, 0
	.set _ZL33flash_attn_stream_k_fixup_generalILi128ELi2ELi16EEvPfPK15HIP_vector_typeIfLj2EEiiiiS1_IjLj3EES5_S5_S5_.uses_vcc, 1
	.set _ZL33flash_attn_stream_k_fixup_generalILi128ELi2ELi16EEvPfPK15HIP_vector_typeIfLj2EEiiiiS1_IjLj3EES5_S5_S5_.uses_flat_scratch, 0
	.set _ZL33flash_attn_stream_k_fixup_generalILi128ELi2ELi16EEvPfPK15HIP_vector_typeIfLj2EEiiiiS1_IjLj3EES5_S5_S5_.has_dyn_sized_stack, 0
	.set _ZL33flash_attn_stream_k_fixup_generalILi128ELi2ELi16EEvPfPK15HIP_vector_typeIfLj2EEiiiiS1_IjLj3EES5_S5_S5_.has_recursion, 0
	.set _ZL33flash_attn_stream_k_fixup_generalILi128ELi2ELi16EEvPfPK15HIP_vector_typeIfLj2EEiiiiS1_IjLj3EES5_S5_S5_.has_indirect_call, 0
	.section	.AMDGPU.csdata,"",@progbits
; Kernel info:
; codeLenInByte = 3548
; TotalNumSgprs: 46
; NumVgprs: 9
; ScratchSize: 0
; MemoryBound: 0
; FloatMode: 240
; IeeeMode: 1
; LDSByteSize: 0 bytes/workgroup (compile time only)
; SGPRBlocks: 0
; VGPRBlocks: 1
; NumSGPRsForWavesPerEU: 46
; NumVGPRsForWavesPerEU: 9
; Occupancy: 16
; WaveLimiterHint : 0
; COMPUTE_PGM_RSRC2:SCRATCH_EN: 0
; COMPUTE_PGM_RSRC2:USER_SGPR: 2
; COMPUTE_PGM_RSRC2:TRAP_HANDLER: 0
; COMPUTE_PGM_RSRC2:TGID_X_EN: 1
; COMPUTE_PGM_RSRC2:TGID_Y_EN: 1
; COMPUTE_PGM_RSRC2:TGID_Z_EN: 1
; COMPUTE_PGM_RSRC2:TIDIG_COMP_CNT: 0
	.section	.text._ZL26flash_attn_combine_resultsILi128EEvPKfPK15HIP_vector_typeIfLj2EEPfi,"axG",@progbits,_ZL26flash_attn_combine_resultsILi128EEvPKfPK15HIP_vector_typeIfLj2EEPfi,comdat
	.globl	_ZL26flash_attn_combine_resultsILi128EEvPKfPK15HIP_vector_typeIfLj2EEPfi ; -- Begin function _ZL26flash_attn_combine_resultsILi128EEvPKfPK15HIP_vector_typeIfLj2EEPfi
	.p2align	8
	.type	_ZL26flash_attn_combine_resultsILi128EEvPKfPK15HIP_vector_typeIfLj2EEPfi,@function
_ZL26flash_attn_combine_resultsILi128EEvPKfPK15HIP_vector_typeIfLj2EEPfi: ; @_ZL26flash_attn_combine_resultsILi128EEvPKfPK15HIP_vector_typeIfLj2EEPfi
; %bb.0:
	s_clause 0x2
	s_load_b64 s[2:3], s[0:1], 0x20
	s_load_b96 s[8:10], s[0:1], 0x10
	s_load_b128 s[4:7], s[0:1], 0x0
	s_lshr_b32 s0, ttmp7, 16
	v_lshlrev_b32_e32 v5, 2, v0
	s_mov_b32 s12, exec_lo
	s_wait_kmcnt 0x0
	s_mul_i32 s0, s2, s0
	s_and_b32 s2, ttmp7, 0xffff
	s_add_co_i32 s0, s0, ttmp9
	s_lshl_b32 s1, s10, 1
	s_mul_i32 s11, s0, s3
	s_delay_alu instid0(SALU_CYCLE_1) | instskip(NEXT) | instid1(SALU_CYCLE_1)
	s_add_co_i32 s11, s11, s2
	s_mul_i32 s2, s11, s10
	v_cmpx_gt_i32_e64 s1, v0
	s_cbranch_execz .LBB4_3
; %bb.1:
	s_ashr_i32 s3, s2, 31
	v_dual_mov_b32 v4, v0 :: v_dual_add_nc_u32 v3, 0, v5
	s_lshl_b64 s[14:15], s[2:3], 3
	s_mov_b32 s3, 0
	s_add_nc_u64 s[6:7], s[6:7], s[14:15]
	s_delay_alu instid0(SALU_CYCLE_1)
	v_add_co_u32 v1, s0, s6, v5
	s_wait_alu 0xf1ff
	v_add_co_ci_u32_e64 v2, null, s7, 0, s0
.LBB4_2:                                ; =>This Inner Loop Header: Depth=1
	global_load_b32 v6, v[1:2], off
	v_add_nc_u32_e32 v4, 0x80, v4
	v_add_co_u32 v1, vcc_lo, 0x200, v1
	s_wait_alu 0xfffd
	v_add_co_ci_u32_e64 v2, null, 0, v2, vcc_lo
	s_delay_alu instid0(VALU_DEP_3)
	v_cmp_le_i32_e64 s0, s1, v4
	s_or_b32 s3, s0, s3
	s_wait_loadcnt 0x0
	ds_store_b32 v3, v6
	v_add_nc_u32_e32 v3, 0x200, v3
	s_and_not1_b32 exec_lo, exec_lo, s3
	s_cbranch_execnz .LBB4_2
.LBB4_3:
	s_or_b32 exec_lo, exec_lo, s12
	v_mov_b32_e32 v1, 0
	s_wait_dscnt 0x0
	s_barrier_signal -1
	s_barrier_wait -1
	global_inv scope:SCOPE_SE
	ds_load_b32 v6, v1
	s_cmp_lt_i32 s10, 2
	s_cbranch_scc1 .LBB4_11
; %bb.4:
	s_add_co_i32 s1, s10, -2
	s_add_co_i32 s0, s10, -1
	s_wait_alu 0xfffe
	s_cmp_lt_u32 s1, 7
	s_cbranch_scc1 .LBB4_8
; %bb.5:
	s_mov_b32 s3, 0
	s_add_co_i32 s1, 0, 8
	s_and_b32 s6, s0, -8
.LBB4_6:                                ; =>This Inner Loop Header: Depth=1
	s_wait_alu 0xfffe
	v_mov_b32_e32 v9, s1
	s_mov_b32 s7, s3
	s_add_co_i32 s3, s3, 8
	s_add_co_i32 s1, s1, 64
	s_cmp_eq_u32 s6, s3
	ds_load_2addr_b32 v[1:2], v9 offset1:2
	ds_load_2addr_b32 v[3:4], v9 offset0:4 offset1:6
	ds_load_2addr_b32 v[7:8], v9 offset0:8 offset1:10
	;; [unrolled: 1-line block ×3, first 2 shown]
	s_wait_dscnt 0x3
	v_max3_num_f32 v1, v6, v1, v2
	s_wait_dscnt 0x2
	s_delay_alu instid0(VALU_DEP_1) | instskip(SKIP_1) | instid1(VALU_DEP_1)
	v_max3_num_f32 v1, v1, v3, v4
	s_wait_dscnt 0x1
	v_max3_num_f32 v1, v1, v7, v8
	s_wait_dscnt 0x0
	s_delay_alu instid0(VALU_DEP_1)
	v_max3_num_f32 v6, v1, v9, v10
	s_cbranch_scc0 .LBB4_6
; %bb.7:
	s_wait_alu 0xfffe
	s_add_co_i32 s1, s7, 9
	s_and_b32 s0, s0, 7
	s_wait_alu 0xfffe
	s_cmp_eq_u32 s0, 0
	s_cbranch_scc0 .LBB4_9
	s_branch .LBB4_11
.LBB4_8:
	s_mov_b32 s1, 1
	s_and_b32 s0, s0, 7
	s_wait_alu 0xfffe
	s_cmp_eq_u32 s0, 0
	s_cbranch_scc1 .LBB4_11
.LBB4_9:
	s_lshl_b32 s1, s1, 3
	s_wait_alu 0xfffe
	s_add_co_i32 s1, s1, 0
.LBB4_10:                               ; =>This Inner Loop Header: Depth=1
	s_wait_dscnt 0x0
	s_wait_alu 0xfffe
	s_delay_alu instid0(VALU_DEP_1)
	v_dual_mov_b32 v1, s1 :: v_dual_max_num_f32 v2, v6, v6
	s_add_co_i32 s0, s0, -1
	s_add_co_i32 s1, s1, 8
	s_wait_alu 0xfffe
	s_cmp_lg_u32 s0, 0
	ds_load_b32 v1, v1
	s_wait_dscnt 0x0
	v_max_num_f32_e32 v1, v1, v1
	s_delay_alu instid0(VALU_DEP_1)
	v_max_num_f32_e32 v6, v2, v1
	s_cbranch_scc1 .LBB4_10
.LBB4_11:
	s_cmp_lt_i32 s10, 1
	s_cbranch_scc1 .LBB4_16
; %bb.12:
	s_lshl_b32 s0, s2, 7
	s_wait_alu 0xfffe
	s_ashr_i32 s1, s0, 31
	s_wait_alu 0xfffe
	s_lshl_b64 s[0:1], s[0:1], 2
	s_cmp_lt_u32 s10, 8
	s_wait_alu 0xfffe
	s_add_nc_u64 s[6:7], s[4:5], s[0:1]
	s_cbranch_scc1 .LBB4_17
; %bb.13:
	v_or_b32_e32 v1, 0x380, v0
	v_dual_mov_b32 v4, 0 :: v_dual_mov_b32 v7, 0
	v_mov_b32_e32 v8, 0
	s_and_b32 s12, s10, 0x7ffffff8
	s_mov_b32 s13, 0
	s_mov_b32 s14, 0
.LBB4_14:                               ; =>This Inner Loop Header: Depth=1
	v_dual_mov_b32 v2, v4 :: v_dual_add_nc_u32 v3, 0xfffffc80, v1
	v_mov_b32_e32 v21, s14
	s_add_co_i32 s13, s13, 8
	s_add_co_i32 s14, s14, 64
	s_delay_alu instid0(VALU_DEP_2) | instskip(SKIP_3) | instid1(VALU_DEP_2)
	v_lshlrev_b64_e32 v[9:10], 2, v[3:4]
	v_add_nc_u32_e32 v3, 0xfffffd00, v1
	v_lshlrev_b64_e32 v[11:12], 2, v[1:2]
	s_cmp_eq_u32 s12, s13
	v_lshlrev_b64_e32 v[13:14], 2, v[3:4]
	s_wait_alu 0xfffe
	v_add_co_u32 v9, vcc_lo, s6, v9
	s_wait_alu 0xfffd
	v_add_co_ci_u32_e64 v10, null, s7, v10, vcc_lo
	v_add_nc_u32_e32 v3, 0xfffffd80, v1
	v_add_co_u32 v13, vcc_lo, s6, v13
	global_load_b32 v25, v[9:10], off
	s_wait_alu 0xfffd
	v_add_co_ci_u32_e64 v14, null, s7, v14, vcc_lo
	v_lshlrev_b64_e32 v[15:16], 2, v[3:4]
	v_add_nc_u32_e32 v3, 0xfffffe00, v1
	global_load_b32 v26, v[13:14], off
	v_add_co_u32 v13, vcc_lo, s6, v15
	s_wait_alu 0xfffd
	v_add_co_ci_u32_e64 v14, null, s7, v16, vcc_lo
	v_lshlrev_b64_e32 v[9:10], 2, v[3:4]
	v_add_nc_u32_e32 v3, 0xfffffe80, v1
	global_load_b32 v27, v[13:14], off
	v_add_co_u32 v9, vcc_lo, s6, v9
	v_lshlrev_b64_e32 v[15:16], 2, v[3:4]
	v_add_nc_u32_e32 v3, 0xffffff00, v1
	s_wait_alu 0xfffd
	v_add_co_ci_u32_e64 v10, null, s7, v10, vcc_lo
	global_load_b32 v28, v[9:10], off
	v_lshlrev_b64_e32 v[13:14], 2, v[3:4]
	v_add_nc_u32_e32 v3, 0xffffff80, v1
	v_add_co_u32 v9, vcc_lo, s6, v15
	s_wait_alu 0xfffd
	v_add_co_ci_u32_e64 v10, null, s7, v16, vcc_lo
	s_delay_alu instid0(VALU_DEP_4)
	v_add_co_u32 v13, vcc_lo, s6, v13
	v_lshlrev_b64_e32 v[2:3], 2, v[3:4]
	s_wait_alu 0xfffd
	v_add_co_ci_u32_e64 v14, null, s7, v14, vcc_lo
	s_clause 0x1
	global_load_b32 v29, v[9:10], off
	global_load_b32 v30, v[13:14], off
	v_add_co_u32 v2, vcc_lo, s6, v2
	s_wait_alu 0xfffd
	v_add_co_ci_u32_e64 v3, null, s7, v3, vcc_lo
	v_add_co_u32 v9, vcc_lo, s6, v11
	s_wait_alu 0xfffd
	v_add_co_ci_u32_e64 v10, null, s7, v12, vcc_lo
	s_clause 0x1
	global_load_b32 v2, v[2:3], off
	global_load_b32 v3, v[9:10], off
	ds_load_2addr_b64 v[9:12], v21 offset1:1
	ds_load_2addr_b64 v[13:16], v21 offset0:2 offset1:3
	ds_load_2addr_b64 v[17:20], v21 offset0:4 offset1:5
	;; [unrolled: 1-line block ×3, first 2 shown]
	v_add_nc_u32_e32 v1, 0x400, v1
	s_wait_dscnt 0x1
	v_sub_f32_e32 v19, v19, v6
	v_sub_f32_e32 v11, v11, v6
	s_wait_dscnt 0x0
	v_sub_f32_e32 v23, v23, v6
	s_delay_alu instid0(VALU_DEP_3) | instskip(NEXT) | instid1(VALU_DEP_3)
	v_dual_sub_f32 v13, v13, v6 :: v_dual_mul_f32 v36, 0x3fb8aa3b, v19
	v_mul_f32_e32 v32, 0x3fb8aa3b, v11
	s_delay_alu instid0(VALU_DEP_2) | instskip(SKIP_1) | instid1(VALU_DEP_4)
	v_dual_mul_f32 v38, 0x3fb8aa3b, v23 :: v_dual_mul_f32 v33, 0x3fb8aa3b, v13
	v_cmp_ngt_f32_e32 vcc_lo, 0xc2ce8ed0, v13
	v_xor_b32_e32 v49, 0x80000000, v36
	s_delay_alu instid0(VALU_DEP_4) | instskip(SKIP_4) | instid1(VALU_DEP_4)
	v_xor_b32_e32 v41, 0x80000000, v32
	v_rndne_f32_e32 v42, v32
	v_xor_b32_e32 v43, 0x80000000, v33
	v_rndne_f32_e32 v44, v33
	v_rndne_f32_e32 v50, v36
	v_dual_fmac_f32 v41, 0x3fb8aa3b, v11 :: v_dual_sub_f32 v32, v32, v42
	s_delay_alu instid0(VALU_DEP_4) | instskip(NEXT) | instid1(VALU_DEP_4)
	v_fmac_f32_e32 v43, 0x3fb8aa3b, v13
	v_sub_f32_e32 v33, v33, v44
	v_cvt_i32_f32_e32 v42, v42
	s_delay_alu instid0(VALU_DEP_4) | instskip(SKIP_3) | instid1(VALU_DEP_4)
	v_fmac_f32_e32 v41, 0x32a5705f, v11
	v_sub_f32_e32 v15, v15, v6
	v_fmac_f32_e32 v43, 0x32a5705f, v13
	v_cvt_i32_f32_e32 v44, v44
	v_dual_fmac_f32 v49, 0x3fb8aa3b, v19 :: v_dual_add_f32 v32, v32, v41
	s_delay_alu instid0(VALU_DEP_4) | instskip(NEXT) | instid1(VALU_DEP_4)
	v_dual_sub_f32 v9, v9, v6 :: v_dual_mul_f32 v34, 0x3fb8aa3b, v15
	v_add_f32_e32 v33, v33, v43
	v_cmp_ngt_f32_e64 s0, 0xc2ce8ed0, v15
	s_delay_alu instid0(VALU_DEP_4) | instskip(NEXT) | instid1(VALU_DEP_3)
	v_exp_f32_e32 v32, v32
	v_mul_f32_e32 v31, 0x3fb8aa3b, v9
	v_xor_b32_e32 v45, 0x80000000, v34
	v_rndne_f32_e32 v46, v34
	v_exp_f32_e32 v33, v33
	v_cmp_ngt_f32_e64 s5, 0xc2ce8ed0, v9
	v_xor_b32_e32 v39, 0x80000000, v31
	v_rndne_f32_e32 v40, v31
	v_dual_fmac_f32 v45, 0x3fb8aa3b, v15 :: v_dual_sub_f32 v34, v34, v46
	s_delay_alu instid0(TRANS32_DEP_2) | instskip(NEXT) | instid1(VALU_DEP_4)
	v_ldexp_f32 v32, v32, v42
	v_fmac_f32_e32 v39, 0x3fb8aa3b, v9
	s_delay_alu instid0(VALU_DEP_4)
	v_sub_f32_e32 v31, v31, v40
	v_cvt_i32_f32_e32 v40, v40
	v_fmac_f32_e32 v45, 0x32a5705f, v15
	v_sub_f32_e32 v17, v17, v6
	v_fmac_f32_e32 v39, 0x32a5705f, v9
	v_ldexp_f32 v33, v33, v44
	v_cvt_i32_f32_e32 v46, v46
	v_add_f32_e32 v34, v34, v45
	s_delay_alu instid0(VALU_DEP_4) | instskip(SKIP_2) | instid1(VALU_DEP_4)
	v_dual_sub_f32 v36, v36, v50 :: v_dual_add_f32 v31, v31, v39
	v_fmac_f32_e32 v49, 0x32a5705f, v19
	v_xor_b32_e32 v53, 0x80000000, v38
	v_exp_f32_e32 v34, v34
	v_cvt_i32_f32_e32 v50, v50
	v_exp_f32_e32 v31, v31
	v_add_f32_e32 v36, v36, v49
	v_cmp_ngt_f32_e64 s1, 0xc2ce8ed0, v17
	v_rndne_f32_e32 v54, v38
	v_cmp_ngt_f32_e64 s2, 0xc2ce8ed0, v19
	s_delay_alu instid0(VALU_DEP_4) | instskip(NEXT) | instid1(TRANS32_DEP_3)
	v_exp_f32_e32 v36, v36
	v_ldexp_f32 v34, v34, v46
	s_delay_alu instid0(VALU_DEP_3) | instskip(NEXT) | instid1(TRANS32_DEP_2)
	v_sub_f32_e32 v38, v38, v54
	v_ldexp_f32 v31, v31, v40
	v_cvt_i32_f32_e32 v54, v54
	s_wait_alu 0xf1ff
	s_delay_alu instid0(VALU_DEP_2) | instskip(SKIP_1) | instid1(TRANS32_DEP_1)
	v_cndmask_b32_e64 v31, 0, v31, s5
	v_cmp_ngt_f32_e64 s5, 0xc2ce8ed0, v11
	v_ldexp_f32 v36, v36, v50
	s_wait_alu 0xf1ff
	s_delay_alu instid0(VALU_DEP_2) | instskip(SKIP_2) | instid1(VALU_DEP_1)
	v_cndmask_b32_e64 v32, 0, v32, s5
	v_cmp_nlt_f32_e64 s5, 0x42b17218, v9
	s_wait_alu 0xf1ff
	v_cndmask_b32_e64 v9, 0x7f800000, v31, s5
	s_wait_alu 0xfffd
	v_cndmask_b32_e32 v31, 0, v33, vcc_lo
	v_cmp_nlt_f32_e32 vcc_lo, 0x42b17218, v11
	s_wait_alu 0xfffd
	v_dual_fmac_f32 v8, v9, v10 :: v_dual_cndmask_b32 v11, 0x7f800000, v32
	v_cmp_nlt_f32_e32 vcc_lo, 0x42b17218, v13
	s_delay_alu instid0(VALU_DEP_2)
	v_fmac_f32_e32 v8, v11, v12
	s_wait_alu 0xfffd
	v_cndmask_b32_e32 v10, 0x7f800000, v31, vcc_lo
	v_cmp_nlt_f32_e32 vcc_lo, 0x42b17218, v15
	v_fmac_f32_e32 v53, 0x3fb8aa3b, v23
	v_cmp_ngt_f32_e64 s4, 0xc2ce8ed0, v23
	s_delay_alu instid0(VALU_DEP_2) | instskip(NEXT) | instid1(VALU_DEP_1)
	v_dual_fmac_f32 v8, v10, v14 :: v_dual_fmac_f32 v53, 0x32a5705f, v23
	v_dual_sub_f32 v21, v21, v6 :: v_dual_add_f32 v38, v38, v53
	s_delay_alu instid0(VALU_DEP_1) | instskip(NEXT) | instid1(VALU_DEP_2)
	v_cmp_ngt_f32_e64 s3, 0xc2ce8ed0, v21
	v_exp_f32_e32 v38, v38
	s_delay_alu instid0(TRANS32_DEP_1) | instskip(SKIP_4) | instid1(VALU_DEP_1)
	v_ldexp_f32 v38, v38, v54
	s_wait_loadcnt 0x7
	v_fmac_f32_e32 v7, v25, v9
	v_cndmask_b32_e64 v9, 0, v34, s0
	s_wait_alu 0xfffd
	v_cndmask_b32_e32 v9, 0x7f800000, v9, vcc_lo
	s_wait_loadcnt 0x6
	v_fmac_f32_e32 v7, v26, v11
	v_cmp_nlt_f32_e32 vcc_lo, 0x42b17218, v17
	s_delay_alu instid0(VALU_DEP_3) | instskip(SKIP_1) | instid1(VALU_DEP_3)
	v_dual_fmac_f32 v8, v9, v16 :: v_dual_mul_f32 v35, 0x3fb8aa3b, v17
	s_wait_loadcnt 0x5
	v_fmac_f32_e32 v7, v27, v10
	s_delay_alu instid0(VALU_DEP_2) | instskip(SKIP_2) | instid1(VALU_DEP_3)
	v_xor_b32_e32 v47, 0x80000000, v35
	v_rndne_f32_e32 v48, v35
	v_cndmask_b32_e64 v10, 0, v36, s2
	v_fmac_f32_e32 v47, 0x3fb8aa3b, v17
	s_delay_alu instid0(VALU_DEP_3) | instskip(SKIP_1) | instid1(VALU_DEP_3)
	v_sub_f32_e32 v35, v35, v48
	v_cvt_i32_f32_e32 v48, v48
	v_fmac_f32_e32 v47, 0x32a5705f, v17
	s_wait_loadcnt 0x4
	v_fmac_f32_e32 v7, v28, v9
	s_delay_alu instid0(VALU_DEP_2) | instskip(NEXT) | instid1(VALU_DEP_1)
	v_add_f32_e32 v35, v35, v47
	v_exp_f32_e32 v35, v35
	s_delay_alu instid0(TRANS32_DEP_1) | instskip(NEXT) | instid1(VALU_DEP_1)
	v_ldexp_f32 v35, v35, v48
	v_cndmask_b32_e64 v11, 0, v35, s1
	s_wait_alu 0xfffd
	s_delay_alu instid0(VALU_DEP_1) | instskip(SKIP_1) | instid1(VALU_DEP_2)
	v_cndmask_b32_e32 v11, 0x7f800000, v11, vcc_lo
	v_cmp_nlt_f32_e32 vcc_lo, 0x42b17218, v19
	v_fmac_f32_e32 v8, v11, v18
	s_wait_alu 0xfffd
	v_cndmask_b32_e32 v10, 0x7f800000, v10, vcc_lo
	v_mul_f32_e32 v37, 0x3fb8aa3b, v21
	s_wait_loadcnt 0x3
	v_fmac_f32_e32 v7, v29, v11
	v_cmp_nlt_f32_e32 vcc_lo, 0x42b17218, v21
	s_wait_alu 0xf1ff
	v_cndmask_b32_e64 v11, 0, v38, s4
	v_fmac_f32_e32 v8, v10, v20
	v_xor_b32_e32 v51, 0x80000000, v37
	v_rndne_f32_e32 v52, v37
	s_wait_loadcnt 0x2
	v_fmac_f32_e32 v7, v30, v10
	s_delay_alu instid0(VALU_DEP_3) | instskip(NEXT) | instid1(VALU_DEP_3)
	v_fmac_f32_e32 v51, 0x3fb8aa3b, v21
	v_sub_f32_e32 v37, v37, v52
	v_cvt_i32_f32_e32 v52, v52
	s_delay_alu instid0(VALU_DEP_3) | instskip(NEXT) | instid1(VALU_DEP_1)
	v_fmac_f32_e32 v51, 0x32a5705f, v21
	v_add_f32_e32 v37, v37, v51
	s_delay_alu instid0(VALU_DEP_1) | instskip(NEXT) | instid1(TRANS32_DEP_1)
	v_exp_f32_e32 v37, v37
	v_ldexp_f32 v37, v37, v52
	s_delay_alu instid0(VALU_DEP_1) | instskip(SKIP_1) | instid1(VALU_DEP_1)
	v_cndmask_b32_e64 v9, 0, v37, s3
	s_wait_alu 0xfffd
	v_cndmask_b32_e32 v9, 0x7f800000, v9, vcc_lo
	v_cmp_nlt_f32_e32 vcc_lo, 0x42b17218, v23
	s_delay_alu instid0(VALU_DEP_2) | instskip(SKIP_4) | instid1(VALU_DEP_1)
	v_fmac_f32_e32 v8, v9, v22
	s_wait_loadcnt 0x1
	s_wait_alu 0xfffd
	v_dual_cndmask_b32 v10, 0x7f800000, v11 :: v_dual_fmac_f32 v7, v2, v9
	s_wait_loadcnt 0x0
	v_dual_fmac_f32 v8, v10, v24 :: v_dual_fmac_f32 v7, v3, v10
	s_cbranch_scc0 .LBB4_14
; %bb.15:
	s_and_b32 s0, s10, 7
	s_wait_alu 0xfffe
	s_cmp_eq_u32 s0, 0
	s_cbranch_scc0 .LBB4_18
	s_branch .LBB4_20
.LBB4_16:
	v_mov_b32_e32 v0, 0x7fc00000
	s_branch .LBB4_21
.LBB4_17:
	v_dual_mov_b32 v7, 0 :: v_dual_mov_b32 v8, 0
	s_mov_b32 s12, 0
	s_and_b32 s0, s10, 7
	s_wait_alu 0xfffe
	s_cmp_eq_u32 s0, 0
	s_cbranch_scc1 .LBB4_20
.LBB4_18:
	v_lshl_or_b32 v0, s12, 7, v0
	v_mov_b32_e32 v1, 0
	s_lshl_b32 s1, s12, 3
	s_wait_alu 0xfffe
	s_add_co_i32 s1, s1, 0
.LBB4_19:                               ; =>This Inner Loop Header: Depth=1
	s_delay_alu instid0(VALU_DEP_1) | instskip(SKIP_2) | instid1(VALU_DEP_2)
	v_lshlrev_b64_e32 v[2:3], 2, v[0:1]
	s_add_co_i32 s0, s0, -1
	v_add_nc_u32_e32 v0, 0x80, v0
	v_add_co_u32 v2, vcc_lo, s6, v2
	s_wait_alu 0xfffd
	s_delay_alu instid0(VALU_DEP_3)
	v_add_co_ci_u32_e64 v3, null, s7, v3, vcc_lo
	global_load_b32 v4, v[2:3], off
	s_wait_alu 0xfffe
	v_mov_b32_e32 v2, s1
	s_add_co_i32 s1, s1, 8
	s_cmp_lg_u32 s0, 0
	ds_load_b64 v[2:3], v2
	s_wait_dscnt 0x0
	v_sub_f32_e32 v2, v2, v6
	s_delay_alu instid0(VALU_DEP_1) | instskip(SKIP_1) | instid1(VALU_DEP_2)
	v_mul_f32_e32 v9, 0x3fb8aa3b, v2
	v_cmp_ngt_f32_e32 vcc_lo, 0xc2ce8ed0, v2
	v_xor_b32_e32 v10, 0x80000000, v9
	v_rndne_f32_e32 v11, v9
	s_delay_alu instid0(VALU_DEP_1) | instskip(NEXT) | instid1(VALU_DEP_1)
	v_dual_fmac_f32 v10, 0x3fb8aa3b, v2 :: v_dual_sub_f32 v9, v9, v11
	v_fmac_f32_e32 v10, 0x32a5705f, v2
	s_delay_alu instid0(VALU_DEP_1) | instskip(SKIP_1) | instid1(VALU_DEP_2)
	v_add_f32_e32 v9, v9, v10
	v_cvt_i32_f32_e32 v10, v11
	v_exp_f32_e32 v9, v9
	s_delay_alu instid0(TRANS32_DEP_1) | instskip(SKIP_1) | instid1(VALU_DEP_1)
	v_ldexp_f32 v9, v9, v10
	s_wait_alu 0xfffd
	v_cndmask_b32_e32 v9, 0, v9, vcc_lo
	v_cmp_nlt_f32_e32 vcc_lo, 0x42b17218, v2
	s_wait_alu 0xfffd
	s_delay_alu instid0(VALU_DEP_2) | instskip(SKIP_1) | instid1(VALU_DEP_1)
	v_cndmask_b32_e32 v2, 0x7f800000, v9, vcc_lo
	s_wait_loadcnt 0x0
	v_dual_fmac_f32 v8, v2, v3 :: v_dual_fmac_f32 v7, v4, v2
	s_cbranch_scc1 .LBB4_19
.LBB4_20:
	s_delay_alu instid0(VALU_DEP_1) | instskip(NEXT) | instid1(VALU_DEP_1)
	v_div_scale_f32 v0, null, v8, v8, v7
	v_rcp_f32_e32 v1, v0
	s_delay_alu instid0(TRANS32_DEP_1) | instskip(NEXT) | instid1(VALU_DEP_1)
	v_fma_f32 v2, -v0, v1, 1.0
	v_fmac_f32_e32 v1, v2, v1
	v_div_scale_f32 v2, vcc_lo, v7, v8, v7
	s_delay_alu instid0(VALU_DEP_1) | instskip(NEXT) | instid1(VALU_DEP_1)
	v_mul_f32_e32 v3, v2, v1
	v_fma_f32 v4, -v0, v3, v2
	s_delay_alu instid0(VALU_DEP_1) | instskip(NEXT) | instid1(VALU_DEP_1)
	v_fmac_f32_e32 v3, v4, v1
	v_fma_f32 v0, -v0, v3, v2
	s_wait_alu 0xfffd
	s_delay_alu instid0(VALU_DEP_1) | instskip(NEXT) | instid1(VALU_DEP_1)
	v_div_fmas_f32 v0, v0, v1, v3
	v_div_fixup_f32 v0, v0, v8, v7
.LBB4_21:
	s_lshl_b32 s0, s11, 7
	s_wait_alu 0xfffe
	s_ashr_i32 s1, s0, 31
	s_wait_alu 0xfffe
	s_lshl_b64 s[0:1], s[0:1], 2
	s_wait_alu 0xfffe
	s_add_nc_u64 s[0:1], s[8:9], s[0:1]
	global_store_b32 v5, v0, s[0:1]
	s_endpgm
	.section	.rodata,"a",@progbits
	.p2align	6, 0x0
	.amdhsa_kernel _ZL26flash_attn_combine_resultsILi128EEvPKfPK15HIP_vector_typeIfLj2EEPfi
		.amdhsa_group_segment_fixed_size 0
		.amdhsa_private_segment_fixed_size 0
		.amdhsa_kernarg_size 288
		.amdhsa_user_sgpr_count 2
		.amdhsa_user_sgpr_dispatch_ptr 0
		.amdhsa_user_sgpr_queue_ptr 0
		.amdhsa_user_sgpr_kernarg_segment_ptr 1
		.amdhsa_user_sgpr_dispatch_id 0
		.amdhsa_user_sgpr_private_segment_size 0
		.amdhsa_wavefront_size32 1
		.amdhsa_uses_dynamic_stack 0
		.amdhsa_enable_private_segment 0
		.amdhsa_system_sgpr_workgroup_id_x 1
		.amdhsa_system_sgpr_workgroup_id_y 1
		.amdhsa_system_sgpr_workgroup_id_z 1
		.amdhsa_system_sgpr_workgroup_info 0
		.amdhsa_system_vgpr_workitem_id 0
		.amdhsa_next_free_vgpr 55
		.amdhsa_next_free_sgpr 16
		.amdhsa_reserve_vcc 1
		.amdhsa_float_round_mode_32 0
		.amdhsa_float_round_mode_16_64 0
		.amdhsa_float_denorm_mode_32 3
		.amdhsa_float_denorm_mode_16_64 3
		.amdhsa_fp16_overflow 0
		.amdhsa_workgroup_processor_mode 1
		.amdhsa_memory_ordered 1
		.amdhsa_forward_progress 1
		.amdhsa_inst_pref_size 21
		.amdhsa_round_robin_scheduling 0
		.amdhsa_exception_fp_ieee_invalid_op 0
		.amdhsa_exception_fp_denorm_src 0
		.amdhsa_exception_fp_ieee_div_zero 0
		.amdhsa_exception_fp_ieee_overflow 0
		.amdhsa_exception_fp_ieee_underflow 0
		.amdhsa_exception_fp_ieee_inexact 0
		.amdhsa_exception_int_div_zero 0
	.end_amdhsa_kernel
	.section	.text._ZL26flash_attn_combine_resultsILi128EEvPKfPK15HIP_vector_typeIfLj2EEPfi,"axG",@progbits,_ZL26flash_attn_combine_resultsILi128EEvPKfPK15HIP_vector_typeIfLj2EEPfi,comdat
.Lfunc_end4:
	.size	_ZL26flash_attn_combine_resultsILi128EEvPKfPK15HIP_vector_typeIfLj2EEPfi, .Lfunc_end4-_ZL26flash_attn_combine_resultsILi128EEvPKfPK15HIP_vector_typeIfLj2EEPfi
                                        ; -- End function
	.set _ZL26flash_attn_combine_resultsILi128EEvPKfPK15HIP_vector_typeIfLj2EEPfi.num_vgpr, 55
	.set _ZL26flash_attn_combine_resultsILi128EEvPKfPK15HIP_vector_typeIfLj2EEPfi.num_agpr, 0
	.set _ZL26flash_attn_combine_resultsILi128EEvPKfPK15HIP_vector_typeIfLj2EEPfi.numbered_sgpr, 16
	.set _ZL26flash_attn_combine_resultsILi128EEvPKfPK15HIP_vector_typeIfLj2EEPfi.num_named_barrier, 0
	.set _ZL26flash_attn_combine_resultsILi128EEvPKfPK15HIP_vector_typeIfLj2EEPfi.private_seg_size, 0
	.set _ZL26flash_attn_combine_resultsILi128EEvPKfPK15HIP_vector_typeIfLj2EEPfi.uses_vcc, 1
	.set _ZL26flash_attn_combine_resultsILi128EEvPKfPK15HIP_vector_typeIfLj2EEPfi.uses_flat_scratch, 0
	.set _ZL26flash_attn_combine_resultsILi128EEvPKfPK15HIP_vector_typeIfLj2EEPfi.has_dyn_sized_stack, 0
	.set _ZL26flash_attn_combine_resultsILi128EEvPKfPK15HIP_vector_typeIfLj2EEPfi.has_recursion, 0
	.set _ZL26flash_attn_combine_resultsILi128EEvPKfPK15HIP_vector_typeIfLj2EEPfi.has_indirect_call, 0
	.section	.AMDGPU.csdata,"",@progbits
; Kernel info:
; codeLenInByte = 2564
; TotalNumSgprs: 18
; NumVgprs: 55
; ScratchSize: 0
; MemoryBound: 0
; FloatMode: 240
; IeeeMode: 1
; LDSByteSize: 0 bytes/workgroup (compile time only)
; SGPRBlocks: 0
; VGPRBlocks: 6
; NumSGPRsForWavesPerEU: 18
; NumVGPRsForWavesPerEU: 55
; Occupancy: 16
; WaveLimiterHint : 0
; COMPUTE_PGM_RSRC2:SCRATCH_EN: 0
; COMPUTE_PGM_RSRC2:USER_SGPR: 2
; COMPUTE_PGM_RSRC2:TRAP_HANDLER: 0
; COMPUTE_PGM_RSRC2:TGID_X_EN: 1
; COMPUTE_PGM_RSRC2:TGID_Y_EN: 1
; COMPUTE_PGM_RSRC2:TGID_Z_EN: 1
; COMPUTE_PGM_RSRC2:TIDIG_COMP_CNT: 0
	.section	.text._ZL15flash_attn_tileILi192ELi128ELi1ELi16ELb0EEvPKcS1_S1_S1_S1_PKiPfP15HIP_vector_typeIfLj2EEffffjfiS5_IjLj3EEiiiiiiiiiiiliiliiiiil,"axG",@progbits,_ZL15flash_attn_tileILi192ELi128ELi1ELi16ELb0EEvPKcS1_S1_S1_S1_PKiPfP15HIP_vector_typeIfLj2EEffffjfiS5_IjLj3EEiiiiiiiiiiiliiliiiiil,comdat
	.globl	_ZL15flash_attn_tileILi192ELi128ELi1ELi16ELb0EEvPKcS1_S1_S1_S1_PKiPfP15HIP_vector_typeIfLj2EEffffjfiS5_IjLj3EEiiiiiiiiiiiliiliiiiil ; -- Begin function _ZL15flash_attn_tileILi192ELi128ELi1ELi16ELb0EEvPKcS1_S1_S1_S1_PKiPfP15HIP_vector_typeIfLj2EEffffjfiS5_IjLj3EEiiiiiiiiiiiliiliiiiil
	.p2align	8
	.type	_ZL15flash_attn_tileILi192ELi128ELi1ELi16ELb0EEvPKcS1_S1_S1_S1_PKiPfP15HIP_vector_typeIfLj2EEffffjfiS5_IjLj3EEiiiiiiiiiiiliiliiiiil,@function
_ZL15flash_attn_tileILi192ELi128ELi1ELi16ELb0EEvPKcS1_S1_S1_S1_PKiPfP15HIP_vector_typeIfLj2EEffffjfiS5_IjLj3EEiiiiiiiiiiiliiliiiiil: ; @_ZL15flash_attn_tileILi192ELi128ELi1ELi16ELb0EEvPKcS1_S1_S1_S1_PKiPfP15HIP_vector_typeIfLj2EEffffjfiS5_IjLj3EEiiiiiiiiiiiliiliiiiil
; %bb.0:
	s_clause 0x1
	s_load_b128 s[20:23], s[0:1], 0x5c
	s_load_b64 s[30:31], s[0:1], 0x80
	s_lshr_b32 s5, ttmp7, 16
	s_load_b64 s[36:37], s[0:1], 0xb8
	s_mov_b64 s[34:35], 0
	s_wait_kmcnt 0x0
	s_ashr_i32 s2, s23, 31
	s_delay_alu instid0(SALU_CYCLE_1) | instskip(NEXT) | instid1(SALU_CYCLE_1)
	s_lshr_b32 s2, s2, 28
	s_add_co_i32 s2, s23, s2
	s_delay_alu instid0(SALU_CYCLE_1) | instskip(NEXT) | instid1(SALU_CYCLE_1)
	s_ashr_i32 s2, s2, 4
	s_cvt_f32_u32 s3, s2
	s_sub_co_i32 s4, 0, s2
	s_delay_alu instid0(SALU_CYCLE_2) | instskip(NEXT) | instid1(TRANS32_DEP_1)
	v_rcp_iflag_f32_e32 v1, s3
	v_readfirstlane_b32 s3, v1
	s_mul_f32 s3, s3, 0x4f7ffffe
	s_wait_alu 0xfffe
	s_delay_alu instid0(SALU_CYCLE_2) | instskip(SKIP_1) | instid1(SALU_CYCLE_2)
	s_cvt_u32_f32 s3, s3
	s_wait_alu 0xfffe
	s_mul_i32 s4, s4, s3
	s_delay_alu instid0(SALU_CYCLE_1) | instskip(NEXT) | instid1(SALU_CYCLE_1)
	s_mul_hi_u32 s4, s3, s4
	s_add_co_i32 s3, s3, s4
	s_wait_alu 0xfffe
	s_mul_hi_u32 s3, s5, s3
	s_wait_alu 0xfffe
	s_mul_i32 s4, s3, s2
	s_add_co_i32 s6, s3, 1
	s_sub_co_i32 s4, s5, s4
	s_delay_alu instid0(SALU_CYCLE_1)
	s_sub_co_i32 s7, s4, s2
	s_cmp_ge_u32 s4, s2
	s_cselect_b32 s3, s6, s3
	s_cselect_b32 s4, s7, s4
	s_wait_alu 0xfffe
	s_add_co_i32 s6, s3, 1
	s_cmp_ge_u32 s4, s2
	s_cselect_b32 s28, s6, s3
	s_abs_i32 s2, s31
	s_abs_i32 s7, s23
	s_wait_alu 0xfffe
	s_cvt_f32_u32 s3, s2
	s_sub_co_i32 s4, 0, s2
	s_lshl_b32 s5, s5, 4
	s_mul_i32 s6, s28, s23
	s_wait_alu 0xfffe
	v_rcp_iflag_f32_e32 v1, s3
	s_sub_co_i32 s33, s5, s6
	s_delay_alu instid0(TRANS32_DEP_1) | instskip(SKIP_2) | instid1(SALU_CYCLE_2)
	v_readfirstlane_b32 s3, v1
	s_mul_f32 s3, s3, 0x4f7ffffe
	s_wait_alu 0xfffe
	s_cvt_u32_f32 s3, s3
	s_wait_alu 0xfffe
	s_delay_alu instid0(SALU_CYCLE_2) | instskip(NEXT) | instid1(SALU_CYCLE_1)
	s_mul_i32 s4, s4, s3
	s_mul_hi_u32 s4, s3, s4
	s_delay_alu instid0(SALU_CYCLE_1)
	s_add_co_i32 s3, s3, s4
	s_xor_b32 s4, s23, s31
	s_wait_alu 0xfffe
	s_mul_hi_u32 s3, s7, s3
	s_ashr_i32 s24, s4, 31
	s_wait_alu 0xfffe
	s_mul_i32 s5, s3, s2
	s_delay_alu instid0(SALU_CYCLE_1)
	s_sub_co_i32 s4, s7, s5
	s_add_co_i32 s5, s3, 1
	s_sub_co_i32 s6, s4, s2
	s_cmp_ge_u32 s4, s2
	s_cselect_b32 s3, s5, s3
	s_cselect_b32 s4, s6, s4
	s_wait_alu 0xfffe
	s_add_co_i32 s5, s3, 1
	s_cmp_ge_u32 s4, s2
	s_cselect_b32 s2, s5, s3
	s_load_b512 s[4:19], s[0:1], 0x0
	s_xor_b32 s2, s2, s24
	s_mov_b32 s3, 0
	s_wait_alu 0xfffe
	s_sub_co_i32 s38, s2, s24
	s_delay_alu instid0(SALU_CYCLE_1) | instskip(NEXT) | instid1(SALU_CYCLE_1)
	s_abs_i32 s31, s38
	s_cvt_f32_u32 s2, s31
	s_wait_alu 0xfffe
	s_delay_alu instid0(SALU_CYCLE_2) | instskip(SKIP_2) | instid1(TRANS32_DEP_1)
	v_rcp_iflag_f32_e32 v1, s2
	s_wait_kmcnt 0x0
	s_cmp_eq_u64 s[10:11], 0
	v_readfirstlane_b32 s24, v1
	s_cbranch_scc1 .LBB5_2
; %bb.1:
	s_abs_i32 s2, s36
	s_wait_alu 0xfffe
	s_cvt_f32_u32 s25, s2
	s_sub_co_i32 s26, 0, s2
	s_delay_alu instid0(SALU_CYCLE_2) | instskip(NEXT) | instid1(TRANS32_DEP_1)
	v_rcp_iflag_f32_e32 v1, s25
	v_readfirstlane_b32 s25, v1
	s_mul_f32 s25, s25, 0x4f7ffffe
	s_wait_alu 0xfffe
	s_delay_alu instid0(SALU_CYCLE_2) | instskip(SKIP_1) | instid1(SALU_CYCLE_2)
	s_cvt_u32_f32 s25, s25
	s_wait_alu 0xfffe
	s_mul_i32 s26, s26, s25
	s_delay_alu instid0(SALU_CYCLE_1)
	s_mul_hi_u32 s29, s25, s26
	s_load_b64 s[26:27], s[0:1], 0xc8
	s_add_co_i32 s25, s25, s29
	s_wait_alu 0xfffe
	s_mul_hi_u32 s25, s28, s25
	s_wait_alu 0xfffe
	s_mul_i32 s25, s25, s2
	s_wait_alu 0xfffe
	s_sub_co_i32 s25, s28, s25
	s_wait_alu 0xfffe
	s_sub_co_i32 s29, s25, s2
	s_cmp_ge_u32 s25, s2
	s_cselect_b32 s25, s29, s25
	s_wait_alu 0xfffe
	s_sub_co_i32 s29, s25, s2
	s_cmp_ge_u32 s25, s2
	s_cselect_b32 s34, s29, s25
	s_delay_alu instid0(SALU_CYCLE_1) | instskip(SKIP_2) | instid1(SALU_CYCLE_1)
	s_ashr_i32 s35, s34, 31
	s_wait_kmcnt 0x0
	s_mul_u64 s[26:27], s[26:27], s[34:35]
	s_add_nc_u64 s[34:35], s[10:11], s[26:27]
.LBB5_2:
	v_lshrrev_b32_e32 v1, 10, v0
	s_load_b96 s[40:42], s[0:1], 0x70
	v_bfe_u32 v4, v0, 10, 10
	v_and_b32_e32 v0, 0x3ff, v0
	s_delay_alu instid0(VALU_DEP_3) | instskip(NEXT) | instid1(VALU_DEP_2)
	v_bfe_u32 v1, v1, 3, 7
	v_lshlrev_b32_e32 v27, 3, v0
	s_delay_alu instid0(VALU_DEP_2) | instskip(NEXT) | instid1(VALU_DEP_1)
	v_add_nc_u32_e32 v1, ttmp9, v1
	v_mul_hi_u32 v2, s20, v1
	s_wait_kmcnt 0x0
	s_mul_i32 s20, s33, s41
	s_ashr_i32 s27, s41, 31
	s_delay_alu instid0(VALU_DEP_1) | instskip(SKIP_2) | instid1(SALU_CYCLE_1)
	v_add_nc_u32_e32 v2, v1, v2
	s_mov_b32 s26, s41
	s_ashr_i32 s41, s40, 31
	s_lshr_b64 s[10:11], s[40:41], 2
	s_delay_alu instid0(VALU_DEP_1) | instskip(SKIP_3) | instid1(VALU_DEP_1)
	v_lshrrev_b32_e32 v2, s21, v2
	s_lshr_b32 s2, s41, 2
	s_wait_alu 0xfffe
	s_ashr_i32 s21, s20, 31
	v_mul_lo_u32 v2, v2, s22
	s_delay_alu instid0(VALU_DEP_1) | instskip(NEXT) | instid1(VALU_DEP_1)
	v_sub_nc_u32_e32 v5, v1, v2
	v_mad_co_u64_u32 v[2:3], null, s10, v5, 0
	s_lshr_b64 s[10:11], s[26:27], 2
	s_mul_i32 s26, s28, s42
	v_mad_co_u64_u32 v[11:12], null, s2, v5, v[3:4]
	v_lshlrev_b32_e32 v6, 1, v4
	s_lshr_b32 s2, s27, 2
	s_ashr_i32 s27, s26, 31
	s_delay_alu instid0(SALU_CYCLE_1) | instskip(SKIP_2) | instid1(VALU_DEP_2)
	s_add_nc_u64 s[4:5], s[4:5], s[26:27]
	s_wait_alu 0xfffe
	s_add_nc_u64 s[4:5], s[4:5], s[20:21]
	v_dual_mov_b32 v3, v11 :: v_dual_and_b32 v8, 14, v6
	s_delay_alu instid0(VALU_DEP_1) | instskip(NEXT) | instid1(VALU_DEP_2)
	v_lshlrev_b64_e32 v[2:3], 2, v[2:3]
	v_mad_co_u64_u32 v[9:10], null, s10, v8, 0
	s_delay_alu instid0(VALU_DEP_1) | instskip(NEXT) | instid1(VALU_DEP_1)
	v_mov_b32_e32 v7, v10
	v_mad_co_u64_u32 v[10:11], null, s2, v8, v[7:8]
	v_lshlrev_b32_e32 v7, 4, v0
	v_add_co_u32 v11, vcc_lo, s4, v2
	s_delay_alu instid0(VALU_DEP_1)
	v_add_co_ci_u32_e64 v12, null, s5, v3, vcc_lo
	s_load_b32 s4, s[0:1], 0x40
	v_lshlrev_b64_e32 v[2:3], 2, v[9:10]
	v_add_co_u32 v9, vcc_lo, v11, v7
	s_wait_alu 0xfffd
	v_add_co_ci_u32_e64 v10, null, 0, v12, vcc_lo
	s_delay_alu instid0(VALU_DEP_2) | instskip(SKIP_1) | instid1(VALU_DEP_2)
	v_add_co_u32 v2, vcc_lo, v9, v2
	s_wait_alu 0xfffd
	v_add_co_ci_u32_e64 v3, null, v10, v3, vcc_lo
	v_cmp_gt_u32_e32 vcc_lo, 16, v0
	global_load_b128 v[11:14], v[2:3], off
	s_wait_loadcnt 0x0
	s_wait_kmcnt 0x0
	v_fma_mixlo_f16 v7, s4, v12, 0
	v_fma_mixlo_f16 v11, s4, v11, 0
	;; [unrolled: 1-line block ×4, first 2 shown]
	v_mad_u32_u24 v14, 0x300, v4, v27
	v_lshlrev_b32_e32 v7, 16, v7
	v_and_b32_e32 v11, 0xffff, v11
	v_and_b32_e32 v12, 0xffff, v12
	v_lshlrev_b32_e32 v13, 16, v13
	s_delay_alu instid0(VALU_DEP_3) | instskip(SKIP_1) | instid1(VALU_DEP_3)
	v_or_b32_e32 v11, v7, v11
	v_mul_u32_u24_e32 v7, 0x300, v4
	v_or3_b32 v12, v13, v12, 0
	s_delay_alu instid0(VALU_DEP_3)
	v_or3_b32 v11, 0, 0, v11
	ds_store_b64 v14, v[11:12]
	s_and_saveexec_b32 s2, vcc_lo
	s_cbranch_execz .LBB5_4
; %bb.3:
	global_load_b128 v[11:14], v[2:3], off offset:512
	s_wait_loadcnt 0x0
	v_fma_mixlo_f16 v2, s4, v12, 0
	v_fma_mixlo_f16 v3, s4, v11, 0
	;; [unrolled: 1-line block ×4, first 2 shown]
	s_delay_alu instid0(VALU_DEP_4) | instskip(NEXT) | instid1(VALU_DEP_4)
	v_lshlrev_b32_e32 v2, 16, v2
	v_and_b32_e32 v3, 0xffff, v3
	s_delay_alu instid0(VALU_DEP_4) | instskip(NEXT) | instid1(VALU_DEP_4)
	v_and_b32_e32 v11, 0xffff, v11
	v_lshlrev_b32_e32 v12, 16, v12
	s_delay_alu instid0(VALU_DEP_3) | instskip(NEXT) | instid1(VALU_DEP_2)
	v_or_b32_e32 v2, v2, v3
	v_or3_b32 v3, v12, v11, 0
	v_add_nc_u32_e32 v11, v27, v7
	s_delay_alu instid0(VALU_DEP_3)
	v_or3_b32 v2, 0, 0, v2
	ds_store_b64 v11, v[2:3] offset:256
.LBB5_4:
	s_wait_alu 0xfffe
	s_or_b32 exec_lo, exec_lo, s2
	v_or_b32_e32 v11, 1, v6
	s_delay_alu instid0(VALU_DEP_1) | instskip(NEXT) | instid1(VALU_DEP_1)
	v_and_b32_e32 v12, 15, v11
	v_mad_co_u64_u32 v[2:3], null, s10, v12, 0
	s_delay_alu instid0(VALU_DEP_1) | instskip(NEXT) | instid1(VALU_DEP_1)
	v_mad_co_u64_u32 v[12:13], null, s11, v12, v[3:4]
	v_mov_b32_e32 v3, v12
	s_delay_alu instid0(VALU_DEP_1) | instskip(NEXT) | instid1(VALU_DEP_1)
	v_lshlrev_b64_e32 v[2:3], 2, v[2:3]
	v_add_co_u32 v2, s2, v9, v2
	s_wait_alu 0xf1ff
	s_delay_alu instid0(VALU_DEP_2)
	v_add_co_ci_u32_e64 v3, null, v10, v3, s2
	global_load_b128 v[12:15], v[2:3], off
	s_wait_loadcnt 0x0
	v_fma_mixlo_f16 v9, s4, v13, 0
	v_fma_mixlo_f16 v10, s4, v12, 0
	v_fma_mixlo_f16 v12, s4, v14, 0
	v_fma_mixlo_f16 v13, s4, v15, 0
	v_mad_u32_u24 v14, 0x180, v11, v27
	v_lshlrev_b32_e32 v9, 16, v9
	v_and_b32_e32 v10, 0xffff, v10
	v_and_b32_e32 v12, 0xffff, v12
	v_lshlrev_b32_e32 v13, 16, v13
	s_delay_alu instid0(VALU_DEP_3) | instskip(NEXT) | instid1(VALU_DEP_2)
	v_or_b32_e32 v9, v9, v10
	v_or3_b32 v10, v13, v12, 0
	s_delay_alu instid0(VALU_DEP_2)
	v_or3_b32 v9, 0, 0, v9
	ds_store_b64 v14, v[9:10]
	s_and_saveexec_b32 s2, vcc_lo
	s_cbranch_execz .LBB5_6
; %bb.5:
	global_load_b128 v[12:15], v[2:3], off offset:512
	v_mul_u32_u24_e32 v11, 0x180, v11
	s_wait_loadcnt 0x0
	v_fma_mixlo_f16 v2, s4, v13, 0
	v_fma_mixlo_f16 v3, s4, v12, 0
	;; [unrolled: 1-line block ×4, first 2 shown]
	s_delay_alu instid0(VALU_DEP_4) | instskip(NEXT) | instid1(VALU_DEP_4)
	v_lshlrev_b32_e32 v2, 16, v2
	v_and_b32_e32 v3, 0xffff, v3
	s_delay_alu instid0(VALU_DEP_4) | instskip(NEXT) | instid1(VALU_DEP_4)
	v_and_b32_e32 v9, 0xffff, v9
	v_lshlrev_b32_e32 v10, 16, v10
	s_delay_alu instid0(VALU_DEP_3) | instskip(NEXT) | instid1(VALU_DEP_2)
	v_or_b32_e32 v2, v2, v3
	v_or3_b32 v3, v10, v9, 0
	v_add_nc_u32_e32 v9, v27, v11
	s_delay_alu instid0(VALU_DEP_3)
	v_or3_b32 v2, 0, 0, v2
	ds_store_b64 v9, v[2:3] offset:256
.LBB5_6:
	s_wait_alu 0xfffe
	s_or_b32 exec_lo, exec_lo, s2
	s_cmp_eq_u64 s[14:15], 0
	s_wait_dscnt 0x0
	s_barrier_signal -1
	s_barrier_wait -1
	global_inv scope:SCOPE_SE
	s_cbranch_scc1 .LBB5_8
; %bb.7:
	s_load_b32 s2, s[0:1], 0xd0
	s_mov_b32 s5, 0
	s_wait_kmcnt 0x0
	s_mul_i32 s2, s2, s28
	s_wait_alu 0xfffe
	s_add_co_i32 s4, s2, ttmp9
	s_wait_alu 0xfffe
	s_lshl_b64 s[4:5], s[4:5], 2
	s_wait_alu 0xfffe
	s_add_nc_u64 s[4:5], s[14:15], s[4:5]
	s_load_b32 s30, s[4:5], 0x0
.LBB5_8:
	s_and_b32 s10, ttmp7, 0xffff
	v_mbcnt_lo_u32_b32 v9, -1, 0
	s_wait_alu 0xfffe
	s_lshl_b32 s14, s10, 5
	s_wait_kmcnt 0x0
	s_cmp_lt_i32 s14, s30
	s_cbranch_scc1 .LBB5_11
; %bb.9:
	v_mbcnt_lo_u32_b32 v2, -1, 0
	v_mov_b32_e32 v11, 32
	s_delay_alu instid0(VALU_DEP_2)
	v_xor_b32_e32 v16, 16, v2
	v_xor_b32_e32 v15, 8, v2
	;; [unrolled: 1-line block ×5, first 2 shown]
	v_lshlrev_b32_e32 v10, 2, v0
	s_mov_b32 s29, 0
	s_cbranch_execz .LBB5_12
; %bb.10:
	v_dual_mov_b32 v30, 0 :: v_dual_mov_b32 v31, 0
	v_dual_mov_b32 v4, 0xfeffffff :: v_dual_mov_b32 v3, 0xfeffffff
	;; [unrolled: 1-line block ×4, first 2 shown]
	s_branch .LBB5_15
.LBB5_11:
                                        ; implicit-def: $vgpr2
                                        ; implicit-def: $vgpr11
                                        ; implicit-def: $vgpr16
                                        ; implicit-def: $vgpr15
                                        ; implicit-def: $vgpr14
                                        ; implicit-def: $vgpr13
                                        ; implicit-def: $vgpr12
	v_lshlrev_b32_e32 v10, 2, v0
	s_mov_b32 s29, 0
.LBB5_12:
	s_mul_f32 s2, s24, 0x4f7ffffe
	s_clause 0x1
	s_load_b128 s[24:27], s[0:1], 0x98
	s_load_b64 s[4:5], s[0:1], 0x8c
	s_sub_co_i32 s15, 0, s31
	v_lshrrev_b32_e32 v2, 3, v0
	s_cvt_u32_f32 s11, s2
	s_abs_i32 s2, s33
	s_mov_b32 s21, s3
	s_ashr_i32 s36, s33, 31
	s_wait_alu 0xfffe
	s_mul_i32 s15, s15, s11
	v_lshl_add_u32 v12, v4, 2, v2
	s_mul_hi_u32 s15, s11, s15
	s_ashr_i32 s40, s38, 31
	s_add_co_i32 s20, s11, s15
	s_ashr_i32 s11, s37, 1
	s_wait_alu 0xfffe
	s_mul_u64 s[20:21], s[2:3], s[20:21]
	s_xor_b32 s15, s36, s40
	s_wait_alu 0xfffe
	s_mul_i32 s3, s21, s31
	s_add_co_i32 s36, s21, 1
	s_wait_alu 0xfffe
	s_sub_co_i32 s2, s2, s3
	v_dual_mov_b32 v32, 0 :: v_dual_and_b32 v13, 28, v10
	s_wait_kmcnt 0x0
	s_ashr_i32 s20, s26, 2
	s_ashr_i32 s26, s4, 2
	s_wait_alu 0xfffe
	s_sub_co_i32 s3, s2, s31
	s_cmp_ge_u32 s2, s31
	v_mul_lo_u32 v2, s26, v12
	s_cselect_b32 s4, s36, s21
	s_wait_alu 0xfffe
	s_cselect_b32 s2, s3, s2
	s_add_co_i32 s21, s4, 1
	s_wait_alu 0xfffe
	s_cmp_ge_u32 s2, s31
	s_mul_u64 s[2:3], s[24:25], s[28:29]
	s_cselect_b32 s4, s21, s4
	s_wait_alu 0xfffe
	s_add_nc_u64 s[2:3], s[6:7], s[2:3]
	v_ashrrev_i32_e32 v3, 31, v2
	s_xor_b32 s4, s4, s15
	v_lshrrev_b32_e32 v11, 4, v0
	s_wait_alu 0xfffe
	s_sub_co_i32 s15, s4, s15
	v_mul_u32_u24_e32 v12, 0x90, v12
	s_mul_i32 s4, s15, s5
	v_lshlrev_b64_e32 v[2:3], 2, v[2:3]
	s_wait_alu 0xfffe
	s_ashr_i32 s5, s4, 31
	v_dual_mov_b32 v28, 0 :: v_dual_lshlrev_b32 v13, 2, v13
	s_wait_alu 0xfffe
	s_add_nc_u64 s[2:3], s[2:3], s[4:5]
	v_dual_mov_b32 v25, 0 :: v_dual_and_b32 v14, 60, v10
	s_wait_alu 0xfffe
	v_add_co_u32 v2, vcc_lo, s2, v2
	s_wait_alu 0xfffd
	v_add_co_ci_u32_e64 v3, null, s3, v3, vcc_lo
	v_add_nc_u32_e32 v6, v11, v6
	v_add3_u32 v17, v12, v13, 0x1800
	v_add_co_u32 v18, vcc_lo, v2, v13
	v_dual_mov_b32 v30, 0 :: v_dual_lshlrev_b32 v13, 2, v14
	s_load_b64 s[38:39], s[0:1], 0xa8
	v_add_co_ci_u32_e64 v19, null, 0, v3, vcc_lo
	v_mad_co_u64_u32 v[2:3], null, v5, s11, v[0:1]
	s_delay_alu instid0(VALU_DEP_3)
	v_lshl_or_b32 v3, v6, 8, v13
	v_lshl_add_u32 v21, v4, 7, 0x2a00
	v_xor_b32_e32 v16, 16, v9
	v_xor_b32_e32 v15, 8, v9
	;; [unrolled: 1-line block ×3, first 2 shown]
	v_add_nc_u32_e32 v22, 0x1800, v3
	v_mov_b32_e32 v3, 0xfeffffff
	v_mul_lo_u32 v11, s20, v6
	v_dual_mov_b32 v29, 0 :: v_dual_add_nc_u32 v26, 0x1800, v27
	v_add_nc_u32_e32 v27, 0x2000, v27
	s_ashr_i32 s21, s20, 31
	v_mov_b32_e32 v31, 0
	s_delay_alu instid0(VALU_DEP_4)
	v_ashrrev_i32_e32 v12, 31, v11
	s_wait_kmcnt 0x0
	s_mul_u64 s[24:25], s[38:39], s[28:29]
	s_wait_alu 0xfffe
	s_add_nc_u64 s[6:7], s[8:9], s[24:25]
	s_mul_i32 s8, s15, s27
	v_lshlrev_b64_e32 v[11:12], 2, v[11:12]
	s_ashr_i32 s9, s8, 31
	s_ashr_i32 s27, s26, 31
	s_add_nc_u64 s[4:5], s[6:7], s[8:9]
	s_movk_i32 s6, 0x1800
	s_wait_alu 0xfffe
	v_add_co_u32 v4, vcc_lo, s4, v11
	s_wait_alu 0xfffd
	v_add_co_ci_u32_e64 v5, null, s5, v12, vcc_lo
	v_mad_u32_u24 v20, 0x90, v0, s6
	s_delay_alu instid0(VALU_DEP_3) | instskip(SKIP_1) | instid1(VALU_DEP_3)
	v_add_co_u32 v23, vcc_lo, v4, v13
	s_wait_alu 0xfffd
	v_add_co_ci_u32_e64 v24, null, 0, v5, vcc_lo
	v_mov_b32_e32 v11, 32
	v_xor_b32_e32 v13, 2, v9
	v_xor_b32_e32 v12, 1, v9
	v_mov_b32_e32 v4, 0xfeffffff
	s_add_nc_u64 s[6:7], s[0:1], 0xd0
.LBB5_13:                               ; =>This Inner Loop Header: Depth=1
	s_ashr_i32 s15, s14, 31
	v_dual_mov_b32 v33, 0 :: v_dual_mov_b32 v34, 0
	s_wait_alu 0xfffe
	s_mul_u64 s[2:3], s[14:15], s[26:27]
	s_mul_u64 s[4:5], s[14:15], s[20:21]
	s_wait_alu 0xfffe
	s_lshl_b64 s[2:3], s[2:3], 2
	s_lshl_b64 s[4:5], s[4:5], 2
	s_wait_alu 0xfffe
	v_add_co_u32 v5, vcc_lo, v18, s2
	s_wait_alu 0xfffd
	v_add_co_ci_u32_e64 v6, null, s3, v19, vcc_lo
	s_or_b32 s2, s14, 16
	s_wait_alu 0xfffe
	s_ashr_i32 s3, s2, 31
	global_load_b128 v[35:38], v[5:6], off
	s_wait_alu 0xfffe
	s_mul_u64 s[2:3], s[2:3], s[20:21]
	s_wait_alu 0xfffe
	s_lshl_b64 s[2:3], s[2:3], 2
	s_wait_loadcnt 0x0
	ds_store_b128 v17, v[35:38]
	s_wait_dscnt 0x0
	s_barrier_signal -1
	s_barrier_wait -1
	global_inv scope:SCOPE_SE
	ds_load_b128 v[35:38], v20
	ds_load_b128 v[39:42], v7
	ds_load_b128 v[43:46], v7 offset:384
	s_wait_dscnt 0x1
	;;#ASMSTART
	v_dot2_f32_f16 v33, v35, v39, v33
	;;#ASMEND
	;;#ASMSTART
	v_dot2_f32_f16 v33, v36, v40, v33
	;;#ASMEND
	;;#ASMSTART
	v_dot2_f32_f16 v33, v37, v41, v33
	;;#ASMEND
	;;#ASMSTART
	v_dot2_f32_f16 v33, v38, v42, v33
	;;#ASMEND
	s_wait_dscnt 0x0
	;;#ASMSTART
	v_dot2_f32_f16 v34, v35, v43, v34
	;;#ASMEND
	;;#ASMSTART
	v_dot2_f32_f16 v34, v36, v44, v34
	;;#ASMEND
	;;#ASMSTART
	v_dot2_f32_f16 v34, v37, v45, v34
	;;#ASMEND
	;;#ASMSTART
	v_dot2_f32_f16 v34, v38, v46, v34
	;;#ASMEND
	ds_load_b128 v[35:38], v20 offset:16
	ds_load_b128 v[39:42], v7 offset:16
	ds_load_b128 v[43:46], v7 offset:400
	s_wait_dscnt 0x1
	;;#ASMSTART
	v_dot2_f32_f16 v33, v35, v39, v33
	;;#ASMEND
	;;#ASMSTART
	v_dot2_f32_f16 v33, v36, v40, v33
	;;#ASMEND
	;;#ASMSTART
	v_dot2_f32_f16 v33, v37, v41, v33
	;;#ASMEND
	;;#ASMSTART
	v_dot2_f32_f16 v33, v38, v42, v33
	;;#ASMEND
	s_wait_dscnt 0x0
	;;#ASMSTART
	v_dot2_f32_f16 v34, v35, v43, v34
	;;#ASMEND
	;;#ASMSTART
	v_dot2_f32_f16 v34, v36, v44, v34
	;;#ASMEND
	;;#ASMSTART
	v_dot2_f32_f16 v34, v37, v45, v34
	;;#ASMEND
	;;#ASMSTART
	v_dot2_f32_f16 v34, v38, v46, v34
	;;#ASMEND
	ds_load_b128 v[35:38], v20 offset:32
	ds_load_b128 v[39:42], v7 offset:32
	;; [unrolled: 29-line block ×7, first 2 shown]
	ds_load_b128 v[43:46], v7 offset:496
	s_wait_dscnt 0x1
	;;#ASMSTART
	v_dot2_f32_f16 v33, v35, v39, v33
	;;#ASMEND
	;;#ASMSTART
	v_dot2_f32_f16 v33, v36, v40, v33
	;;#ASMEND
	;; [unrolled: 3-line block ×4, first 2 shown]
	s_wait_dscnt 0x0
	;;#ASMSTART
	v_dot2_f32_f16 v34, v35, v43, v34
	;;#ASMEND
	;;#ASMSTART
	v_dot2_f32_f16 v34, v36, v44, v34
	;;#ASMEND
	;; [unrolled: 3-line block ×4, first 2 shown]
	s_wait_loadcnt 0x0
	s_barrier_signal -1
	s_barrier_wait -1
	global_inv scope:SCOPE_SE
	global_load_b128 v[35:38], v[5:6], off offset:128
	s_wait_loadcnt 0x0
	ds_store_b128 v17, v[35:38]
	s_wait_dscnt 0x0
	s_barrier_signal -1
	s_barrier_wait -1
	global_inv scope:SCOPE_SE
	ds_load_b128 v[35:38], v20
	ds_load_b128 v[39:42], v7 offset:128
	ds_load_b128 v[43:46], v7 offset:512
	s_wait_dscnt 0x1
	;;#ASMSTART
	v_dot2_f32_f16 v33, v35, v39, v33
	;;#ASMEND
	;;#ASMSTART
	v_dot2_f32_f16 v33, v36, v40, v33
	;;#ASMEND
	;;#ASMSTART
	v_dot2_f32_f16 v33, v37, v41, v33
	;;#ASMEND
	;;#ASMSTART
	v_dot2_f32_f16 v33, v38, v42, v33
	;;#ASMEND
	s_wait_dscnt 0x0
	;;#ASMSTART
	v_dot2_f32_f16 v34, v35, v43, v34
	;;#ASMEND
	;;#ASMSTART
	v_dot2_f32_f16 v34, v36, v44, v34
	;;#ASMEND
	;;#ASMSTART
	v_dot2_f32_f16 v34, v37, v45, v34
	;;#ASMEND
	;;#ASMSTART
	v_dot2_f32_f16 v34, v38, v46, v34
	;;#ASMEND
	ds_load_b128 v[35:38], v20 offset:16
	ds_load_b128 v[39:42], v7 offset:144
	ds_load_b128 v[43:46], v7 offset:528
	s_wait_dscnt 0x1
	;;#ASMSTART
	v_dot2_f32_f16 v33, v35, v39, v33
	;;#ASMEND
	;;#ASMSTART
	v_dot2_f32_f16 v33, v36, v40, v33
	;;#ASMEND
	;;#ASMSTART
	v_dot2_f32_f16 v33, v37, v41, v33
	;;#ASMEND
	;;#ASMSTART
	v_dot2_f32_f16 v33, v38, v42, v33
	;;#ASMEND
	s_wait_dscnt 0x0
	;;#ASMSTART
	v_dot2_f32_f16 v34, v35, v43, v34
	;;#ASMEND
	;;#ASMSTART
	v_dot2_f32_f16 v34, v36, v44, v34
	;;#ASMEND
	;;#ASMSTART
	v_dot2_f32_f16 v34, v37, v45, v34
	;;#ASMEND
	;;#ASMSTART
	v_dot2_f32_f16 v34, v38, v46, v34
	;;#ASMEND
	ds_load_b128 v[35:38], v20 offset:32
	;; [unrolled: 29-line block ×7, first 2 shown]
	ds_load_b128 v[39:42], v7 offset:240
	ds_load_b128 v[43:46], v7 offset:624
	s_wait_dscnt 0x1
	;;#ASMSTART
	v_dot2_f32_f16 v33, v35, v39, v33
	;;#ASMEND
	;;#ASMSTART
	v_dot2_f32_f16 v33, v36, v40, v33
	;;#ASMEND
	;; [unrolled: 3-line block ×4, first 2 shown]
	s_wait_dscnt 0x0
	;;#ASMSTART
	v_dot2_f32_f16 v34, v35, v43, v34
	;;#ASMEND
	;;#ASMSTART
	v_dot2_f32_f16 v34, v36, v44, v34
	;;#ASMEND
	;; [unrolled: 3-line block ×4, first 2 shown]
	s_wait_loadcnt 0x0
	s_barrier_signal -1
	s_barrier_wait -1
	global_inv scope:SCOPE_SE
	global_load_b128 v[35:38], v[5:6], off offset:256
	v_add_nc_u32_e32 v5, s14, v2
	s_delay_alu instid0(VALU_DEP_1) | instskip(NEXT) | instid1(VALU_DEP_1)
	v_ashrrev_i32_e32 v6, 31, v5
	v_lshlrev_b64_e32 v[5:6], 1, v[5:6]
	s_delay_alu instid0(VALU_DEP_1) | instskip(SKIP_1) | instid1(VALU_DEP_2)
	v_add_co_u32 v5, vcc_lo, s34, v5
	s_wait_alu 0xfffd
	v_add_co_ci_u32_e64 v6, null, s35, v6, vcc_lo
	v_cmp_gt_i32_e32 vcc_lo, 32, v16
	s_wait_loadcnt 0x0
	ds_store_b128 v17, v[35:38]
	s_wait_dscnt 0x0
	s_barrier_signal -1
	s_barrier_wait -1
	global_inv scope:SCOPE_SE
	ds_load_b128 v[35:38], v20
	ds_load_b128 v[39:42], v7 offset:256
	ds_load_b128 v[43:46], v7 offset:640
	s_wait_dscnt 0x1
	;;#ASMSTART
	v_dot2_f32_f16 v33, v35, v39, v33
	;;#ASMEND
	;;#ASMSTART
	v_dot2_f32_f16 v33, v36, v40, v33
	;;#ASMEND
	;;#ASMSTART
	v_dot2_f32_f16 v33, v37, v41, v33
	;;#ASMEND
	;;#ASMSTART
	v_dot2_f32_f16 v33, v38, v42, v33
	;;#ASMEND
	s_wait_dscnt 0x0
	;;#ASMSTART
	v_dot2_f32_f16 v34, v35, v43, v34
	;;#ASMEND
	;;#ASMSTART
	v_dot2_f32_f16 v34, v36, v44, v34
	;;#ASMEND
	;;#ASMSTART
	v_dot2_f32_f16 v34, v37, v45, v34
	;;#ASMEND
	;;#ASMSTART
	v_dot2_f32_f16 v34, v38, v46, v34
	;;#ASMEND
	ds_load_b128 v[35:38], v20 offset:16
	ds_load_b128 v[39:42], v7 offset:272
	ds_load_b128 v[43:46], v7 offset:656
	s_wait_dscnt 0x1
	;;#ASMSTART
	v_dot2_f32_f16 v33, v35, v39, v33
	;;#ASMEND
	;;#ASMSTART
	v_dot2_f32_f16 v33, v36, v40, v33
	;;#ASMEND
	;;#ASMSTART
	v_dot2_f32_f16 v33, v37, v41, v33
	;;#ASMEND
	;;#ASMSTART
	v_dot2_f32_f16 v33, v38, v42, v33
	;;#ASMEND
	s_wait_dscnt 0x0
	;;#ASMSTART
	v_dot2_f32_f16 v34, v35, v43, v34
	;;#ASMEND
	;;#ASMSTART
	v_dot2_f32_f16 v34, v36, v44, v34
	;;#ASMEND
	;;#ASMSTART
	v_dot2_f32_f16 v34, v37, v45, v34
	;;#ASMEND
	;;#ASMSTART
	v_dot2_f32_f16 v34, v38, v46, v34
	;;#ASMEND
	ds_load_b128 v[35:38], v20 offset:32
	ds_load_b128 v[39:42], v7 offset:288
	ds_load_b128 v[43:46], v7 offset:672
	s_wait_dscnt 0x1
	;;#ASMSTART
	v_dot2_f32_f16 v33, v35, v39, v33
	;;#ASMEND
	;;#ASMSTART
	v_dot2_f32_f16 v33, v36, v40, v33
	;;#ASMEND
	;;#ASMSTART
	v_dot2_f32_f16 v33, v37, v41, v33
	;;#ASMEND
	;;#ASMSTART
	v_dot2_f32_f16 v33, v38, v42, v33
	;;#ASMEND
	s_wait_dscnt 0x0
	;;#ASMSTART
	v_dot2_f32_f16 v34, v35, v43, v34
	;;#ASMEND
	;;#ASMSTART
	v_dot2_f32_f16 v34, v36, v44, v34
	;;#ASMEND
	;;#ASMSTART
	v_dot2_f32_f16 v34, v37, v45, v34
	;;#ASMEND
	;;#ASMSTART
	v_dot2_f32_f16 v34, v38, v46, v34
	;;#ASMEND
	ds_load_b128 v[35:38], v20 offset:48
	ds_load_b128 v[39:42], v7 offset:304
	ds_load_b128 v[43:46], v7 offset:688
	s_wait_dscnt 0x1
	;;#ASMSTART
	v_dot2_f32_f16 v33, v35, v39, v33
	;;#ASMEND
	;;#ASMSTART
	v_dot2_f32_f16 v33, v36, v40, v33
	;;#ASMEND
	;;#ASMSTART
	v_dot2_f32_f16 v33, v37, v41, v33
	;;#ASMEND
	;;#ASMSTART
	v_dot2_f32_f16 v33, v38, v42, v33
	;;#ASMEND
	s_wait_dscnt 0x0
	;;#ASMSTART
	v_dot2_f32_f16 v34, v35, v43, v34
	;;#ASMEND
	;;#ASMSTART
	v_dot2_f32_f16 v34, v36, v44, v34
	;;#ASMEND
	;;#ASMSTART
	v_dot2_f32_f16 v34, v37, v45, v34
	;;#ASMEND
	;;#ASMSTART
	v_dot2_f32_f16 v34, v38, v46, v34
	;;#ASMEND
	ds_load_b128 v[35:38], v20 offset:64
	ds_load_b128 v[39:42], v7 offset:320
	ds_load_b128 v[43:46], v7 offset:704
	s_wait_dscnt 0x1
	;;#ASMSTART
	v_dot2_f32_f16 v33, v35, v39, v33
	;;#ASMEND
	;;#ASMSTART
	v_dot2_f32_f16 v33, v36, v40, v33
	;;#ASMEND
	;;#ASMSTART
	v_dot2_f32_f16 v33, v37, v41, v33
	;;#ASMEND
	;;#ASMSTART
	v_dot2_f32_f16 v33, v38, v42, v33
	;;#ASMEND
	s_wait_dscnt 0x0
	;;#ASMSTART
	v_dot2_f32_f16 v34, v35, v43, v34
	;;#ASMEND
	;;#ASMSTART
	v_dot2_f32_f16 v34, v36, v44, v34
	;;#ASMEND
	;;#ASMSTART
	v_dot2_f32_f16 v34, v37, v45, v34
	;;#ASMEND
	;;#ASMSTART
	v_dot2_f32_f16 v34, v38, v46, v34
	;;#ASMEND
	ds_load_b128 v[35:38], v20 offset:80
	ds_load_b128 v[39:42], v7 offset:336
	ds_load_b128 v[43:46], v7 offset:720
	s_wait_dscnt 0x1
	;;#ASMSTART
	v_dot2_f32_f16 v33, v35, v39, v33
	;;#ASMEND
	;;#ASMSTART
	v_dot2_f32_f16 v33, v36, v40, v33
	;;#ASMEND
	;;#ASMSTART
	v_dot2_f32_f16 v33, v37, v41, v33
	;;#ASMEND
	;;#ASMSTART
	v_dot2_f32_f16 v33, v38, v42, v33
	;;#ASMEND
	s_wait_dscnt 0x0
	;;#ASMSTART
	v_dot2_f32_f16 v34, v35, v43, v34
	;;#ASMEND
	;;#ASMSTART
	v_dot2_f32_f16 v34, v36, v44, v34
	;;#ASMEND
	;;#ASMSTART
	v_dot2_f32_f16 v34, v37, v45, v34
	;;#ASMEND
	;;#ASMSTART
	v_dot2_f32_f16 v34, v38, v46, v34
	;;#ASMEND
	ds_load_b128 v[35:38], v20 offset:96
	ds_load_b128 v[39:42], v7 offset:352
	ds_load_b128 v[43:46], v7 offset:736
	s_wait_dscnt 0x1
	;;#ASMSTART
	v_dot2_f32_f16 v33, v35, v39, v33
	;;#ASMEND
	;;#ASMSTART
	v_dot2_f32_f16 v33, v36, v40, v33
	;;#ASMEND
	;;#ASMSTART
	v_dot2_f32_f16 v33, v37, v41, v33
	;;#ASMEND
	;;#ASMSTART
	v_dot2_f32_f16 v33, v38, v42, v33
	;;#ASMEND
	s_wait_dscnt 0x0
	;;#ASMSTART
	v_dot2_f32_f16 v34, v35, v43, v34
	;;#ASMEND
	;;#ASMSTART
	v_dot2_f32_f16 v34, v36, v44, v34
	;;#ASMEND
	;;#ASMSTART
	v_dot2_f32_f16 v34, v37, v45, v34
	;;#ASMEND
	;;#ASMSTART
	v_dot2_f32_f16 v34, v38, v46, v34
	;;#ASMEND
	ds_load_b128 v[35:38], v20 offset:112
	ds_load_b128 v[39:42], v7 offset:368
	ds_load_b128 v[43:46], v7 offset:752
	s_wait_dscnt 0x1
	;;#ASMSTART
	v_dot2_f32_f16 v33, v35, v39, v33
	;;#ASMEND
	;;#ASMSTART
	v_dot2_f32_f16 v33, v36, v40, v33
	;;#ASMEND
	;; [unrolled: 3-line block ×4, first 2 shown]
	s_wait_dscnt 0x0
	;;#ASMSTART
	v_dot2_f32_f16 v34, v35, v43, v34
	;;#ASMEND
	;;#ASMSTART
	v_dot2_f32_f16 v34, v36, v44, v34
	;;#ASMEND
	;; [unrolled: 3-line block ×4, first 2 shown]
	global_load_u16 v35, v[5:6], off
	v_dual_mov_b32 v5, v32 :: v_dual_mov_b32 v32, v3
	s_wait_alu 0xfffd
	v_dual_mov_b32 v40, v31 :: v_dual_cndmask_b32 v3, v9, v16
	v_cmp_gt_i32_e32 vcc_lo, 32, v15
	v_mov_b32_e32 v6, v4
	s_wait_loadcnt 0x0
	s_barrier_signal -1
	v_lshlrev_b32_e32 v44, 2, v3
	s_wait_alu 0xfffd
	v_dual_cndmask_b32 v4, v9, v15 :: v_dual_max_num_f32 v43, v6, v6
	v_cmp_gt_i32_e32 vcc_lo, 32, v14
	s_barrier_wait -1
	global_inv scope:SCOPE_SE
	v_lshlrev_b32_e32 v45, 2, v4
	s_wait_alu 0xfffd
	v_dual_max_num_f32 v42, v32, v32 :: v_dual_cndmask_b32 v31, v9, v14
	v_cmp_gt_i32_e32 vcc_lo, 32, v13
	s_wait_alu 0xfffd
	v_cndmask_b32_e32 v36, v9, v13, vcc_lo
	v_cmp_gt_i32_e32 vcc_lo, 32, v12
	s_delay_alu instid0(VALU_DEP_2)
	v_lshlrev_b32_e32 v46, 2, v36
	s_wait_alu 0xfffd
	v_cndmask_b32_e32 v37, v9, v12, vcc_lo
	v_add_co_u32 v3, vcc_lo, v23, s4
	s_wait_alu 0xfffd
	v_add_co_ci_u32_e64 v4, null, s5, v24, vcc_lo
	s_delay_alu instid0(VALU_DEP_3)
	v_lshlrev_b32_e32 v47, 2, v37
	s_wait_alu 0xfffe
	v_add_co_u32 v77, vcc_lo, v23, s2
	global_load_b128 v[36:39], v[3:4], off
	s_wait_alu 0xfffd
	v_add_co_ci_u32_e64 v78, null, s3, v24, vcc_lo
	v_cvt_f32_f16_e32 v3, v35
	s_delay_alu instid0(VALU_DEP_1) | instskip(SKIP_1) | instid1(VALU_DEP_2)
	v_dual_add_f32 v34, v34, v3 :: v_dual_add_nc_u32 v41, v21, v10
	v_lshlrev_b32_e32 v31, 2, v31
	v_dual_add_f32 v33, v33, v3 :: v_dual_add_f32 v4, 0x40051340, v34
	s_delay_alu instid0(VALU_DEP_1) | instskip(NEXT) | instid1(VALU_DEP_1)
	v_dual_add_f32 v3, 0x40051340, v33 :: v_dual_max_num_f32 v4, v43, v4
	v_max_num_f32_e32 v3, v42, v3
	ds_bpermute_b32 v42, v44, v4
	s_wait_dscnt 0x0
	v_max_num_f32_e32 v42, v42, v42
	s_delay_alu instid0(VALU_DEP_1) | instskip(SKIP_4) | instid1(VALU_DEP_1)
	v_max_num_f32_e32 v4, v4, v42
	ds_bpermute_b32 v35, v44, v3
	ds_bpermute_b32 v42, v45, v4
	s_wait_dscnt 0x0
	v_dual_max_num_f32 v35, v35, v35 :: v_dual_max_num_f32 v42, v42, v42
	v_dual_max_num_f32 v3, v3, v35 :: v_dual_max_num_f32 v4, v4, v42
	ds_bpermute_b32 v35, v45, v3
	s_wait_dscnt 0x0
	v_max_num_f32_e32 v35, v35, v35
	s_delay_alu instid0(VALU_DEP_1)
	v_max_num_f32_e32 v3, v3, v35
	ds_bpermute_b32 v35, v31, v3
	ds_bpermute_b32 v31, v31, v4
	s_wait_dscnt 0x1
	v_max_num_f32_e32 v35, v35, v35
	s_wait_dscnt 0x0
	v_max_num_f32_e32 v31, v31, v31
	s_delay_alu instid0(VALU_DEP_2) | instskip(NEXT) | instid1(VALU_DEP_2)
	v_max_num_f32_e32 v3, v3, v35
	v_max_num_f32_e32 v4, v4, v31
	ds_bpermute_b32 v35, v46, v4
	s_wait_dscnt 0x0
	v_max_num_f32_e32 v35, v35, v35
	s_delay_alu instid0(VALU_DEP_1) | instskip(SKIP_3) | instid1(VALU_DEP_1)
	v_max_num_f32_e32 v4, v4, v35
	ds_bpermute_b32 v35, v47, v4
	s_wait_dscnt 0x0
	v_max_num_f32_e32 v35, v35, v35
	v_max_num_f32_e32 v4, v4, v35
	s_delay_alu instid0(VALU_DEP_1) | instskip(NEXT) | instid1(VALU_DEP_1)
	v_sub_f32_e32 v6, v6, v4
	v_mul_f32_e32 v42, 0x3fb8aa3b, v6
	v_cmp_ngt_f32_e64 s2, 0xc2ce8ed0, v6
	s_delay_alu instid0(VALU_DEP_2) | instskip(SKIP_1) | instid1(VALU_DEP_2)
	v_fma_f32 v48, 0x3fb8aa3b, v6, -v42
	v_rndne_f32_e32 v49, v42
	v_fmac_f32_e32 v48, 0x32a5705f, v6
	ds_bpermute_b32 v31, v46, v3
	v_sub_f32_e32 v42, v42, v49
	v_cvt_i32_f32_e32 v49, v49
	s_delay_alu instid0(VALU_DEP_2) | instskip(NEXT) | instid1(VALU_DEP_1)
	v_add_f32_e32 v42, v42, v48
	v_exp_f32_e32 v42, v42
	s_wait_dscnt 0x0
	v_max_num_f32_e32 v31, v31, v31
	s_delay_alu instid0(TRANS32_DEP_1) | instskip(NEXT) | instid1(VALU_DEP_2)
	v_ldexp_f32 v42, v42, v49
	v_max_num_f32_e32 v3, v3, v31
	s_wait_alu 0xf1ff
	s_delay_alu instid0(VALU_DEP_2) | instskip(SKIP_3) | instid1(VALU_DEP_1)
	v_cndmask_b32_e64 v42, 0, v42, s2
	ds_bpermute_b32 v31, v47, v3
	s_wait_dscnt 0x0
	v_max_num_f32_e32 v31, v31, v31
	v_max_num_f32_e32 v3, v3, v31
	s_delay_alu instid0(VALU_DEP_1) | instskip(SKIP_1) | instid1(VALU_DEP_2)
	v_sub_f32_e32 v31, v32, v3
	v_sub_f32_e32 v32, v33, v3
	v_cmp_ngt_f32_e64 s4, 0xc2ce8ed0, v31
	s_delay_alu instid0(VALU_DEP_2) | instskip(NEXT) | instid1(VALU_DEP_1)
	v_mul_f32_e32 v35, 0x3fb8aa3b, v32
	v_fma_f32 v46, 0x3fb8aa3b, v32, -v35
	v_rndne_f32_e32 v47, v35
	s_delay_alu instid0(VALU_DEP_1) | instskip(SKIP_1) | instid1(VALU_DEP_2)
	v_dual_fmac_f32 v46, 0x32a5705f, v32 :: v_dual_sub_f32 v35, v35, v47
	v_cvt_i32_f32_e32 v47, v47
	v_add_f32_e32 v35, v35, v46
	v_sub_f32_e32 v33, v34, v4
	v_cmp_ngt_f32_e32 vcc_lo, 0xc2ce8ed0, v32
	s_delay_alu instid0(VALU_DEP_3) | instskip(NEXT) | instid1(VALU_DEP_2)
	v_exp_f32_e32 v35, v35
	v_mul_f32_e32 v43, 0x3fb8aa3b, v33
	v_cmp_ngt_f32_e64 s3, 0xc2ce8ed0, v33
	v_cmp_nlt_f32_e64 s2, 0x42b17218, v33
	s_delay_alu instid0(VALU_DEP_3) | instskip(SKIP_1) | instid1(TRANS32_DEP_1)
	v_fma_f32 v50, 0x3fb8aa3b, v33, -v43
	v_rndne_f32_e32 v51, v43
	v_ldexp_f32 v35, v35, v47
	s_delay_alu instid0(VALU_DEP_2) | instskip(SKIP_2) | instid1(VALU_DEP_3)
	v_dual_fmac_f32 v50, 0x32a5705f, v33 :: v_dual_sub_f32 v43, v43, v51
	v_mul_f32_e32 v34, 0x3fb8aa3b, v31
	v_cvt_i32_f32_e32 v51, v51
	v_add_f32_e32 v43, v43, v50
	s_delay_alu instid0(VALU_DEP_3) | instskip(SKIP_1) | instid1(VALU_DEP_3)
	v_fma_f32 v44, 0x3fb8aa3b, v31, -v34
	v_rndne_f32_e32 v45, v34
	v_exp_f32_e32 v43, v43
	s_delay_alu instid0(VALU_DEP_2) | instskip(NEXT) | instid1(VALU_DEP_2)
	v_fmac_f32_e32 v44, 0x32a5705f, v31
	v_sub_f32_e32 v34, v34, v45
	v_cvt_i32_f32_e32 v45, v45
	s_delay_alu instid0(VALU_DEP_2) | instskip(NEXT) | instid1(TRANS32_DEP_1)
	v_add_f32_e32 v34, v34, v44
	v_ldexp_f32 v43, v43, v51
	s_delay_alu instid0(VALU_DEP_2) | instskip(NEXT) | instid1(TRANS32_DEP_1)
	v_exp_f32_e32 v34, v34
	v_ldexp_f32 v34, v34, v45
	s_wait_alu 0xf1ff
	s_delay_alu instid0(VALU_DEP_1)
	v_cndmask_b32_e64 v34, 0, v34, s4
	v_cmp_nlt_f32_e64 s4, 0x42b17218, v31
	s_wait_alu 0xfffd
	v_cndmask_b32_e32 v31, 0, v35, vcc_lo
	v_cndmask_b32_e64 v35, 0, v43, s3
	v_cmp_nlt_f32_e64 s3, 0x42b17218, v32
	v_cmp_nlt_f32_e32 vcc_lo, 0x42b17218, v6
	s_wait_alu 0xf1ff
	v_cndmask_b32_e64 v6, 0x7f800000, v34, s4
	s_delay_alu instid0(VALU_DEP_3) | instskip(SKIP_3) | instid1(VALU_DEP_3)
	v_cndmask_b32_e64 v32, 0x7f800000, v31, s3
	v_cndmask_b32_e64 v31, 0x7f800000, v35, s2
	s_wait_alu 0xfffd
	v_cndmask_b32_e32 v33, 0x7f800000, v42, vcc_lo
	v_cvt_f16_f32_e32 v34, v32
	s_delay_alu instid0(VALU_DEP_3)
	v_cvt_f16_f32_e32 v35, v31
	v_fmac_f32_e32 v32, v5, v6
	v_cvt_f16_f32_e32 v5, v6
	v_cvt_f16_f32_e32 v6, v33
	v_fmac_f32_e32 v31, v40, v33
	v_pack_b32_f16 v34, v34, v35
	ds_store_b32 v41, v34
	s_wait_loadcnt 0x0
	ds_store_b128 v22, v[36:39]
	s_wait_dscnt 0x0
	s_barrier_signal -1
	s_barrier_wait -1
	global_inv scope:SCOPE_SE
	ds_load_b128 v[33:36], v21
	ds_load_b128 v[37:40], v21 offset:16
	ds_load_2addr_b64 v[41:44], v26 offset1:32
	ds_load_b128 v[45:48], v21 offset:32
	ds_load_b128 v[49:52], v21 offset:48
	ds_load_2addr_b64 v[53:56], v26 offset0:64 offset1:96
	ds_load_2addr_b64 v[57:60], v26 offset0:128 offset1:160
	;; [unrolled: 1-line block ×3, first 2 shown]
	ds_load_2addr_b64 v[65:68], v27 offset1:32
	ds_load_2addr_b64 v[69:72], v27 offset0:64 offset1:96
	ds_load_2addr_b64 v[73:76], v27 offset0:128 offset1:160
	v_and_b32_e32 v5, 0xffff, v5
	v_and_b32_e32 v6, 0xffff, v6
	s_delay_alu instid0(VALU_DEP_2) | instskip(NEXT) | instid1(VALU_DEP_2)
	v_mul_u32_u24_e32 v5, 0x10001, v5
	v_mul_u32_u24_e32 v6, 0x10001, v6
	s_delay_alu instid0(VALU_DEP_1)
	v_pk_mul_f16 v25, v25, v6
	s_wait_dscnt 0x7
	v_lshrrev_b32_e32 v94, 16, v45
	v_and_b32_e32 v45, 0xffff, v45
	v_lshrrev_b32_e32 v95, 16, v46
	v_and_b32_e32 v46, 0xffff, v46
	v_lshrrev_b32_e32 v96, 16, v47
	v_lshrrev_b32_e32 v79, 16, v33
	v_and_b32_e32 v33, 0xffff, v33
	v_lshrrev_b32_e32 v86, 16, v37
	v_and_b32_e32 v87, 0xffff, v37
	;; [unrolled: 2-line block ×3, first 2 shown]
	v_mul_u32_u24_e32 v98, 0x10001, v33
	v_lshrrev_b32_e32 v82, 16, v35
	v_and_b32_e32 v83, 0xffff, v35
	v_lshrrev_b32_e32 v84, 16, v36
	v_and_b32_e32 v85, 0xffff, v36
	v_pk_mul_f16 v33, v41, v98
	v_lshrrev_b32_e32 v88, 16, v38
	v_and_b32_e32 v89, 0xffff, v38
	v_lshrrev_b32_e32 v90, 16, v39
	v_and_b32_e32 v91, 0xffff, v39
	v_pk_fma_f16 v30, v30, v5, v33
	v_pk_mul_f16 v5, v29, v5
	v_mul_u32_u24_e32 v29, 0x10001, v79
	v_lshrrev_b32_e32 v92, 16, v40
	v_and_b32_e32 v93, 0xffff, v40
	ds_load_2addr_b64 v[33:36], v27 offset0:192 offset1:224
	s_wait_loadcnt_dscnt 0x0
	v_pk_mul_f16 v37, v41, v29
	s_barrier_signal -1
	s_barrier_wait -1
	global_inv scope:SCOPE_SE
	v_pk_fma_f16 v5, v42, v98, v5
	v_pk_fma_f16 v6, v28, v6, v37
	global_load_b128 v[37:40], v[77:78], off
	v_pk_fma_f16 v25, v42, v29, v25
	v_mul_u32_u24_e32 v41, 0x10001, v81
	v_mul_u32_u24_e32 v42, 0x10001, v80
	v_lshrrev_b32_e32 v28, 16, v49
	v_and_b32_e32 v29, 0xffff, v49
	v_lshrrev_b32_e32 v49, 16, v52
	v_pk_fma_f16 v5, v44, v41, v5
	v_pk_fma_f16 v30, v43, v41, v30
	v_lshrrev_b32_e32 v41, 16, v50
	v_pk_fma_f16 v25, v44, v42, v25
	v_pk_fma_f16 v6, v43, v42, v6
	v_and_b32_e32 v42, 0xffff, v50
	v_lshrrev_b32_e32 v43, 16, v51
	v_and_b32_e32 v44, 0xffff, v51
	v_and_b32_e32 v50, 0xffff, v52
	v_mul_u32_u24_e32 v51, 0x10001, v83
	v_mul_u32_u24_e32 v52, 0x10001, v82
	;; [unrolled: 1-line block ×5, first 2 shown]
	v_pk_fma_f16 v5, v54, v51, v5
	v_pk_fma_f16 v25, v54, v52, v25
	v_pk_fma_f16 v30, v53, v51, v30
	v_pk_fma_f16 v6, v53, v52, v6
	v_mul_u32_u24_e32 v80, 0x10001, v86
	v_pk_fma_f16 v5, v56, v77, v5
	v_pk_fma_f16 v25, v56, v78, v25
	v_pk_fma_f16 v30, v55, v77, v30
	v_pk_fma_f16 v6, v55, v78, v6
	v_mul_u32_u24_e32 v81, 0x10001, v89
	v_mul_u32_u24_e32 v82, 0x10001, v88
	v_pk_fma_f16 v5, v58, v79, v5
	v_pk_fma_f16 v25, v58, v80, v25
	v_pk_fma_f16 v30, v57, v79, v30
	v_pk_fma_f16 v6, v57, v80, v6
	v_mul_u32_u24_e32 v83, 0x10001, v91
	;; [unrolled: 6-line block ×4, first 2 shown]
	v_mul_u32_u24_e32 v87, 0x10001, v94
	v_pk_fma_f16 v5, v64, v85, v5
	v_pk_fma_f16 v25, v64, v86, v25
	;; [unrolled: 1-line block ×4, first 2 shown]
	v_and_b32_e32 v47, 0xffff, v47
	v_mul_u32_u24_e32 v46, 0x10001, v46
	v_mul_u32_u24_e32 v88, 0x10001, v95
	v_pk_fma_f16 v5, v66, v45, v5
	v_pk_fma_f16 v25, v66, v87, v25
	;; [unrolled: 1-line block ×4, first 2 shown]
	v_lshrrev_b32_e32 v97, 16, v48
	v_and_b32_e32 v48, 0xffff, v48
	v_mul_u32_u24_e32 v47, 0x10001, v47
	v_mul_u32_u24_e32 v89, 0x10001, v96
	v_pk_fma_f16 v5, v68, v46, v5
	v_pk_fma_f16 v25, v68, v88, v25
	v_pk_fma_f16 v30, v67, v46, v30
	v_pk_fma_f16 v6, v67, v88, v6
	v_mul_u32_u24_e32 v48, 0x10001, v48
	v_mul_u32_u24_e32 v90, 0x10001, v97
	v_pk_fma_f16 v5, v70, v47, v5
	v_pk_fma_f16 v25, v70, v89, v25
	v_pk_fma_f16 v30, v69, v47, v30
	v_pk_fma_f16 v6, v69, v89, v6
	;; [unrolled: 6-line block ×6, first 2 shown]
	s_delay_alu instid0(VALU_DEP_4) | instskip(NEXT) | instid1(VALU_DEP_4)
	v_pk_fma_f16 v5, v36, v50, v5
	v_pk_fma_f16 v25, v36, v49, v25
	s_delay_alu instid0(VALU_DEP_4) | instskip(NEXT) | instid1(VALU_DEP_4)
	v_pk_fma_f16 v28, v35, v50, v28
	v_pk_fma_f16 v6, v35, v49, v6
	s_wait_loadcnt 0x0
	ds_store_b128 v22, v[37:40]
	s_wait_dscnt 0x0
	s_barrier_signal -1
	s_barrier_wait -1
	global_inv scope:SCOPE_SE
	ds_load_b128 v[33:36], v21 offset:64
	ds_load_b128 v[37:40], v21 offset:80
	ds_load_2addr_b64 v[41:44], v26 offset1:32
	ds_load_b128 v[45:48], v21 offset:96
	ds_load_b128 v[49:52], v21 offset:112
	ds_load_2addr_b64 v[53:56], v26 offset0:64 offset1:96
	ds_load_2addr_b64 v[57:60], v26 offset0:128 offset1:160
	ds_load_2addr_b64 v[61:64], v26 offset0:192 offset1:224
	ds_load_2addr_b64 v[65:68], v27 offset1:32
	ds_load_2addr_b64 v[69:72], v27 offset0:64 offset1:96
	ds_load_2addr_b64 v[73:76], v27 offset0:128 offset1:160
	s_wait_dscnt 0xa
	v_lshrrev_b32_e32 v29, 16, v33
	v_and_b32_e32 v30, 0xffff, v33
	v_lshrrev_b32_e32 v77, 16, v34
	v_and_b32_e32 v78, 0xffff, v34
	v_lshrrev_b32_e32 v79, 16, v35
	v_mul_u32_u24_e32 v29, 0x10001, v29
	v_mul_u32_u24_e32 v30, 0x10001, v30
	v_and_b32_e32 v80, 0xffff, v35
	v_mul_u32_u24_e32 v78, 0x10001, v78
	v_mul_u32_u24_e32 v77, 0x10001, v77
	s_wait_dscnt 0x8
	v_pk_fma_f16 v6, v41, v29, v6
	v_pk_fma_f16 v28, v41, v30, v28
	v_pk_fma_f16 v5, v42, v30, v5
	v_pk_fma_f16 v25, v42, v29, v25
	v_lshrrev_b32_e32 v81, 16, v36
	v_and_b32_e32 v82, 0xffff, v36
	v_mul_u32_u24_e32 v80, 0x10001, v80
	v_mul_u32_u24_e32 v79, 0x10001, v79
	v_pk_fma_f16 v28, v43, v78, v28
	v_pk_fma_f16 v6, v43, v77, v6
	v_pk_fma_f16 v5, v44, v78, v5
	v_pk_fma_f16 v25, v44, v77, v25
	v_lshrrev_b32_e32 v83, 16, v37
	v_and_b32_e32 v37, 0xffff, v37
	v_mul_u32_u24_e32 v82, 0x10001, v82
	v_mul_u32_u24_e32 v81, 0x10001, v81
	s_wait_dscnt 0x5
	v_pk_fma_f16 v28, v53, v80, v28
	v_pk_fma_f16 v6, v53, v79, v6
	v_pk_fma_f16 v5, v54, v80, v5
	v_pk_fma_f16 v25, v54, v79, v25
	v_lshrrev_b32_e32 v84, 16, v38
	v_and_b32_e32 v38, 0xffff, v38
	v_mul_u32_u24_e32 v37, 0x10001, v37
	v_mul_u32_u24_e32 v83, 0x10001, v83
	v_pk_fma_f16 v28, v55, v82, v28
	v_pk_fma_f16 v6, v55, v81, v6
	v_pk_fma_f16 v5, v56, v82, v5
	v_pk_fma_f16 v25, v56, v81, v25
	v_lshrrev_b32_e32 v85, 16, v39
	;; [unrolled: 17-line block ×5, first 2 shown]
	v_and_b32_e32 v49, 0xffff, v49
	ds_load_2addr_b64 v[33:36], v27 offset0:192 offset1:224
	v_mul_u32_u24_e32 v37, 0x10001, v48
	v_mul_u32_u24_e32 v38, 0x10001, v90
	s_wait_dscnt 0x2
	v_pk_fma_f16 v28, v69, v41, v28
	v_pk_fma_f16 v6, v69, v42, v6
	;; [unrolled: 1-line block ×4, first 2 shown]
	s_wait_loadcnt_dscnt 0x0
	s_barrier_signal -1
	s_barrier_wait -1
	global_inv scope:SCOPE_SE
	s_load_b32 s2, s[6:7], 0x4
	v_lshrrev_b32_e32 v92, 16, v50
	v_and_b32_e32 v50, 0xffff, v50
	v_mul_u32_u24_e32 v39, 0x10001, v49
	v_mul_u32_u24_e32 v40, 0x10001, v91
	v_pk_fma_f16 v28, v71, v37, v28
	v_pk_fma_f16 v6, v71, v38, v6
	v_pk_fma_f16 v5, v72, v37, v5
	v_pk_fma_f16 v25, v72, v38, v25
	v_lshrrev_b32_e32 v93, 16, v51
	v_and_b32_e32 v51, 0xffff, v51
	v_mul_u32_u24_e32 v43, 0x10001, v50
	v_mul_u32_u24_e32 v29, 0x10001, v92
	v_pk_fma_f16 v28, v73, v39, v28
	v_pk_fma_f16 v6, v73, v40, v6
	v_pk_fma_f16 v5, v74, v39, v5
	v_pk_fma_f16 v25, v74, v40, v25
	;; [unrolled: 8-line block ×3, first 2 shown]
	v_mul_u32_u24_e32 v38, 0x10001, v52
	v_mul_u32_u24_e32 v39, 0x10001, v94
	v_pk_fma_f16 v28, v33, v30, v28
	v_pk_fma_f16 v6, v33, v37, v6
	;; [unrolled: 1-line block ×4, first 2 shown]
	s_wait_kmcnt 0x0
	s_lshl_b32 s2, s2, 5
	v_pk_fma_f16 v30, v35, v38, v28
	v_pk_fma_f16 v28, v35, v39, v6
	v_pk_fma_f16 v29, v36, v38, v5
	v_pk_fma_f16 v25, v36, v39, v25
	s_wait_alu 0xfffe
	s_add_co_i32 s14, s2, s14
	s_wait_alu 0xfffe
	s_cmp_ge_i32 s14, s30
	s_cbranch_scc0 .LBB5_13
; %bb.14:
	v_mov_b32_e32 v2, v9
.LBB5_15:
	v_cmp_lt_i32_e32 vcc_lo, v16, v11
	s_cmp_lg_u64 s[12:13], 0
	s_cselect_b32 s2, -1, 0
	s_cmp_eq_u32 s10, 0
	s_wait_alu 0xfffd
	v_cndmask_b32_e32 v5, v2, v16, vcc_lo
	v_cmp_lt_i32_e32 vcc_lo, v15, v11
	s_cselect_b32 s3, -1, 0
	s_wait_alu 0xfffe
	s_and_b32 s2, s3, s2
	s_wait_alu 0xfffd
	v_cndmask_b32_e32 v7, v2, v15, vcc_lo
	v_cmp_lt_i32_e32 vcc_lo, v14, v11
	s_wait_alu 0xfffd
	v_dual_cndmask_b32 v14, v2, v14 :: v_dual_lshlrev_b32 v5, 2, v5
	ds_bpermute_b32 v6, v5, v32
	ds_bpermute_b32 v5, v5, v31
	v_cmp_lt_i32_e32 vcc_lo, v13, v11
	s_wait_alu 0xfffd
	v_dual_cndmask_b32 v13, v2, v13 :: v_dual_lshlrev_b32 v14, 2, v14
	v_cmp_lt_i32_e32 vcc_lo, v12, v11
	s_wait_alu 0xfffd
	v_cndmask_b32_e32 v2, v2, v12, vcc_lo
	s_wait_alu 0xfffe
	s_and_b32 vcc_lo, exec_lo, s2
	s_mov_b32 s2, 0
	s_delay_alu instid0(VALU_DEP_1)
	v_lshlrev_b32_e32 v2, 2, v2
	s_wait_dscnt 0x1
	v_dual_add_f32 v6, v32, v6 :: v_dual_lshlrev_b32 v7, 2, v7
	ds_bpermute_b32 v9, v7, v6
	s_wait_dscnt 0x0
	v_add_f32_e32 v6, v6, v9
	v_add_f32_e32 v5, v31, v5
	ds_bpermute_b32 v7, v7, v5
	s_wait_dscnt 0x0
	v_add_f32_e32 v5, v5, v7
	ds_bpermute_b32 v7, v14, v6
	ds_bpermute_b32 v9, v14, v5
	s_wait_dscnt 0x1
	v_dual_add_f32 v6, v6, v7 :: v_dual_lshlrev_b32 v13, 2, v13
	s_wait_dscnt 0x0
	v_add_f32_e32 v5, v5, v9
	ds_bpermute_b32 v7, v13, v6
	s_wait_dscnt 0x0
	v_add_f32_e32 v6, v6, v7
	ds_bpermute_b32 v9, v13, v5
	;; [unrolled: 3-line block ×3, first 2 shown]
	ds_bpermute_b32 v2, v2, v7
	s_wait_dscnt 0x0
	v_dual_add_f32 v5, v6, v5 :: v_dual_add_f32 v6, v7, v2
	v_add_nc_u32_e32 v7, s33, v8
	s_wait_alu 0xfffe
	s_cbranch_vccnz .LBB5_18
; %bb.16:
	s_delay_alu instid0(VALU_DEP_2)
	v_dual_mov_b32 v9, v6 :: v_dual_add_nc_u32 v2, s33, v8
	v_mov_b32_e32 v8, v5
	s_and_not1_b32 vcc_lo, exec_lo, s2
	s_wait_alu 0xfffe
	s_cbranch_vccz .LBB5_19
; %bb.17:
	v_mov_b32_e32 v7, v2
	s_branch .LBB5_20
.LBB5_18:
                                        ; implicit-def: $vgpr2
                                        ; implicit-def: $vgpr8_vgpr9
.LBB5_19:
	s_delay_alu instid0(VALU_DEP_1) | instskip(NEXT) | instid1(VALU_DEP_1)
	v_ashrrev_i32_e32 v8, 31, v7
	v_lshlrev_b64_e32 v[8:9], 2, v[7:8]
	s_delay_alu instid0(VALU_DEP_1) | instskip(SKIP_1) | instid1(VALU_DEP_2)
	v_add_co_u32 v8, vcc_lo, s12, v8
	s_wait_alu 0xfffd
	v_add_co_ci_u32_e64 v9, null, s13, v9, vcc_lo
	global_load_b64 v[8:9], v[8:9], off
	v_max_num_f32_e32 v2, v3, v3
	s_wait_loadcnt 0x0
	v_dual_max_num_f32 v12, v4, v4 :: v_dual_max_num_f32 v13, v9, v9
	v_max_num_f32_e32 v11, v8, v8
	s_delay_alu instid0(VALU_DEP_1) | instskip(NEXT) | instid1(VALU_DEP_1)
	v_dual_max_num_f32 v12, v12, v13 :: v_dual_max_num_f32 v11, v2, v11
	v_dual_sub_f32 v9, v9, v12 :: v_dual_sub_f32 v2, v3, v11
	v_sub_f32_e32 v3, v8, v11
	s_delay_alu instid0(VALU_DEP_2) | instskip(NEXT) | instid1(VALU_DEP_2)
	v_dual_mul_f32 v15, 0x3fb8aa3b, v9 :: v_dual_mul_f32 v8, 0x3fb8aa3b, v2
	v_dual_sub_f32 v4, v4, v12 :: v_dual_mul_f32 v13, 0x3fb8aa3b, v3
	v_cmp_ngt_f32_e32 vcc_lo, 0xc2ce8ed0, v2
	s_delay_alu instid0(VALU_DEP_3) | instskip(NEXT) | instid1(VALU_DEP_4)
	v_fma_f32 v22, 0x3fb8aa3b, v9, -v15
	v_fma_f32 v16, 0x3fb8aa3b, v2, -v8
	s_delay_alu instid0(VALU_DEP_4)
	v_mul_f32_e32 v14, 0x3fb8aa3b, v4
	v_rndne_f32_e32 v17, v8
	v_rndne_f32_e32 v23, v15
	v_fma_f32 v18, 0x3fb8aa3b, v3, -v13
	v_rndne_f32_e32 v21, v13
	v_fma_f32 v19, 0x3fb8aa3b, v4, -v14
	v_rndne_f32_e32 v20, v14
	v_fmac_f32_e32 v16, 0x32a5705f, v2
	v_dual_sub_f32 v8, v8, v17 :: v_dual_sub_f32 v15, v15, v23
	s_delay_alu instid0(VALU_DEP_4) | instskip(NEXT) | instid1(VALU_DEP_4)
	v_dual_fmac_f32 v22, 0x32a5705f, v9 :: v_dual_fmac_f32 v19, 0x32a5705f, v4
	v_dual_sub_f32 v14, v14, v20 :: v_dual_sub_f32 v13, v13, v21
	s_delay_alu instid0(VALU_DEP_2) | instskip(NEXT) | instid1(VALU_DEP_4)
	v_dual_fmac_f32 v18, 0x32a5705f, v3 :: v_dual_add_f32 v15, v15, v22
	v_add_f32_e32 v8, v8, v16
	s_delay_alu instid0(VALU_DEP_3) | instskip(SKIP_1) | instid1(VALU_DEP_4)
	v_add_f32_e32 v14, v14, v19
	v_cvt_i32_f32_e32 v16, v17
	v_add_f32_e32 v13, v13, v18
	v_cvt_i32_f32_e32 v17, v20
	v_exp_f32_e32 v8, v8
	v_exp_f32_e32 v14, v14
	v_cvt_i32_f32_e32 v18, v21
	v_exp_f32_e32 v13, v13
	v_exp_f32_e32 v15, v15
	v_ldexp_f32 v8, v8, v16
	s_delay_alu instid0(TRANS32_DEP_3) | instskip(SKIP_1) | instid1(TRANS32_DEP_2)
	v_ldexp_f32 v14, v14, v17
	v_cvt_i32_f32_e32 v16, v23
	v_ldexp_f32 v13, v13, v18
	s_wait_alu 0xfffd
	v_cndmask_b32_e32 v8, 0, v8, vcc_lo
	v_cmp_ngt_f32_e32 vcc_lo, 0xc2ce8ed0, v4
	s_wait_alu 0xfffd
	v_cndmask_b32_e32 v14, 0, v14, vcc_lo
	v_cmp_nlt_f32_e32 vcc_lo, 0x42b17218, v2
	s_wait_alu 0xfffd
	v_cndmask_b32_e32 v2, 0x7f800000, v8, vcc_lo
	v_cmp_nlt_f32_e32 vcc_lo, 0x42b17218, v4
	v_ldexp_f32 v4, v15, v16
	s_wait_alu 0xfffd
	v_cndmask_b32_e32 v14, 0x7f800000, v14, vcc_lo
	v_cmp_ngt_f32_e32 vcc_lo, 0xc2ce8ed0, v3
	s_delay_alu instid0(VALU_DEP_2)
	v_cvt_f16_f32_e32 v15, v14
	s_wait_alu 0xfffd
	v_cndmask_b32_e32 v8, 0, v13, vcc_lo
	v_cmp_ngt_f32_e32 vcc_lo, 0xc2ce8ed0, v9
	s_wait_alu 0xfffd
	v_cndmask_b32_e32 v4, 0, v4, vcc_lo
	v_cmp_nlt_f32_e32 vcc_lo, 0x42b17218, v3
	s_wait_alu 0xfffd
	v_cndmask_b32_e32 v8, 0x7f800000, v8, vcc_lo
	v_cmp_nlt_f32_e32 vcc_lo, 0x42b17218, v9
	s_wait_alu 0xfffd
	v_cndmask_b32_e32 v9, 0x7f800000, v4, vcc_lo
	s_delay_alu instid0(VALU_DEP_1) | instskip(SKIP_2) | instid1(VALU_DEP_2)
	v_fmac_f32_e32 v9, v6, v14
	v_cvt_f16_f32_e32 v13, v2
	v_fmac_f32_e32 v8, v5, v2
	v_dual_mov_b32 v6, v9 :: v_dual_and_b32 v3, 0xffff, v13
	v_and_b32_e32 v13, 0xffff, v15
	s_delay_alu instid0(VALU_DEP_3) | instskip(NEXT) | instid1(VALU_DEP_3)
	v_mov_b32_e32 v5, v8
	v_mul_u32_u24_e32 v2, 0x10001, v3
	v_dual_mov_b32 v3, v11 :: v_dual_mov_b32 v4, v12
	s_delay_alu instid0(VALU_DEP_4) | instskip(NEXT) | instid1(VALU_DEP_3)
	v_mul_u32_u24_e32 v11, 0x10001, v13
	v_pk_mul_f16 v30, v30, v2
	v_pk_mul_f16 v29, v29, v2
	s_delay_alu instid0(VALU_DEP_3)
	v_pk_mul_f16 v28, v28, v11
	v_pk_mul_f16 v25, v25, v11
.LBB5_20:
	s_load_b32 s1, s[0:1], 0xd4
	v_mov_b32_e32 v11, 1.0
	s_wait_kmcnt 0x0
	s_cmp_lg_u32 s1, 1
	s_cselect_b32 s3, -1, 0
	s_cmp_eq_u32 s1, 1
	s_cselect_b32 s2, -1, 0
	s_wait_alu 0xfffe
	s_and_b32 vcc_lo, exec_lo, s3
	s_wait_alu 0xfffe
	s_cbranch_vccnz .LBB5_22
; %bb.21:
	v_div_scale_f32 v2, null, v5, v5, 1.0
	s_delay_alu instid0(VALU_DEP_1) | instskip(NEXT) | instid1(TRANS32_DEP_1)
	v_rcp_f32_e32 v11, v2
	v_fma_f32 v12, -v2, v11, 1.0
	s_delay_alu instid0(VALU_DEP_1) | instskip(SKIP_1) | instid1(VALU_DEP_1)
	v_fmac_f32_e32 v11, v12, v11
	v_div_scale_f32 v12, vcc_lo, 1.0, v5, 1.0
	v_mul_f32_e32 v13, v12, v11
	s_delay_alu instid0(VALU_DEP_1) | instskip(NEXT) | instid1(VALU_DEP_1)
	v_fma_f32 v14, -v2, v13, v12
	v_fmac_f32_e32 v13, v14, v11
	s_delay_alu instid0(VALU_DEP_1) | instskip(SKIP_1) | instid1(VALU_DEP_1)
	v_fma_f32 v2, -v2, v13, v12
	s_wait_alu 0xfffd
	v_div_fmas_f32 v2, v2, v11, v13
	s_delay_alu instid0(VALU_DEP_1)
	v_div_fixup_f32 v11, v2, v5, 1.0
.LBB5_22:
	v_mad_co_u64_u32 v[1:2], null, s28, s22, v[1:2]
	v_cvt_f32_f16_e32 v5, v30
	v_mov_b32_e32 v13, 0
	v_cmp_eq_u32_e32 vcc_lo, 0, v0
	v_lshrrev_b32_e32 v0, 16, v30
	v_mad_co_u64_u32 v[1:2], null, v1, s23, v[7:8]
	v_cvt_f32_f16_e32 v7, v29
	s_delay_alu instid0(VALU_DEP_3) | instskip(NEXT) | instid1(VALU_DEP_2)
	v_cvt_f32_f16_e32 v0, v0
	v_mul_f32_e32 v14, v11, v7
	s_delay_alu instid0(VALU_DEP_4) | instskip(SKIP_1) | instid1(VALU_DEP_1)
	v_mad_co_u64_u32 v[1:2], null, s1, v1, s[10:11]
	v_lshrrev_b32_e32 v2, 16, v29
	v_cvt_f32_f16_e32 v2, v2
	s_delay_alu instid0(VALU_DEP_3) | instskip(NEXT) | instid1(VALU_DEP_2)
	v_lshl_add_u32 v12, v1, 7, v10
	v_mul_f32_e32 v15, v11, v2
	s_delay_alu instid0(VALU_DEP_2) | instskip(SKIP_2) | instid1(VALU_DEP_3)
	v_lshlrev_b64_e32 v[16:17], 2, v[12:13]
	v_mul_f32_e32 v12, v11, v5
	v_mul_f32_e32 v13, v11, v0
	v_add_co_u32 v16, s0, s16, v16
	s_wait_alu 0xf1ff
	s_delay_alu instid0(VALU_DEP_4)
	v_add_co_ci_u32_e64 v17, null, s17, v17, s0
	s_and_b32 s0, vcc_lo, s3
	global_store_b128 v[16:17], v[12:15], off
	s_wait_alu 0xfffe
	s_and_saveexec_b32 s3, s0
	s_cbranch_execz .LBB5_24
; %bb.23:
	v_ashrrev_i32_e32 v2, 31, v1
	s_delay_alu instid0(VALU_DEP_1) | instskip(SKIP_1) | instid1(VALU_DEP_2)
	v_lshlrev_b64_e32 v[11:12], 3, v[1:2]
	v_dual_mov_b32 v2, v3 :: v_dual_mov_b32 v3, v8
	v_add_co_u32 v11, vcc_lo, s18, v11
	s_wait_alu 0xfffd
	s_delay_alu instid0(VALU_DEP_3)
	v_add_co_ci_u32_e64 v12, null, s19, v12, vcc_lo
	global_store_b64 v[11:12], v[2:3], off
.LBB5_24:
	s_wait_alu 0xfffe
	s_or_b32 exec_lo, exec_lo, s3
	v_mov_b32_e32 v2, 1.0
	s_and_not1_b32 vcc_lo, exec_lo, s2
	s_wait_alu 0xfffe
	s_cbranch_vccnz .LBB5_26
; %bb.25:
	v_div_scale_f32 v0, null, v6, v6, 1.0
	s_delay_alu instid0(VALU_DEP_1) | instskip(NEXT) | instid1(TRANS32_DEP_1)
	v_rcp_f32_e32 v2, v0
	v_fma_f32 v3, -v0, v2, 1.0
	s_delay_alu instid0(VALU_DEP_1) | instskip(SKIP_1) | instid1(VALU_DEP_1)
	v_fmac_f32_e32 v2, v3, v2
	v_div_scale_f32 v3, vcc_lo, 1.0, v6, 1.0
	v_mul_f32_e32 v5, v3, v2
	s_delay_alu instid0(VALU_DEP_1) | instskip(NEXT) | instid1(VALU_DEP_1)
	v_fma_f32 v7, -v0, v5, v3
	v_fmac_f32_e32 v5, v7, v2
	s_delay_alu instid0(VALU_DEP_1) | instskip(SKIP_1) | instid1(VALU_DEP_1)
	v_fma_f32 v0, -v0, v5, v3
	s_wait_alu 0xfffd
	v_div_fmas_f32 v0, v0, v2, v5
	s_delay_alu instid0(VALU_DEP_1)
	v_div_fixup_f32 v2, v0, v6, 1.0
.LBB5_26:
	v_cvt_f32_f16_e32 v7, v28
	v_add_nc_u32_e32 v0, s1, v1
	v_cvt_f32_f16_e32 v8, v25
	v_mov_b32_e32 v6, 0
	v_lshrrev_b32_e32 v1, 16, v28
	v_lshrrev_b32_e32 v3, 16, v25
	v_lshl_add_u32 v5, v0, 7, v10
	s_delay_alu instid0(VALU_DEP_3) | instskip(NEXT) | instid1(VALU_DEP_3)
	v_cvt_f32_f16_e32 v1, v1
	v_cvt_f32_f16_e32 v3, v3
	s_delay_alu instid0(VALU_DEP_3)
	v_lshlrev_b64_e32 v[10:11], 2, v[5:6]
	v_mul_f32_e32 v5, v2, v7
	v_mul_f32_e32 v7, v2, v8
	;; [unrolled: 1-line block ×4, first 2 shown]
	v_add_co_u32 v1, vcc_lo, s16, v10
	s_wait_alu 0xfffd
	v_add_co_ci_u32_e64 v2, null, s17, v11, vcc_lo
	global_store_b128 v[1:2], v[5:8], off
	s_and_saveexec_b32 s1, s0
	s_cbranch_execz .LBB5_28
; %bb.27:
	v_ashrrev_i32_e32 v1, 31, v0
	v_mov_b32_e32 v8, v4
	s_delay_alu instid0(VALU_DEP_2) | instskip(NEXT) | instid1(VALU_DEP_1)
	v_lshlrev_b64_e32 v[0:1], 3, v[0:1]
	v_add_co_u32 v0, vcc_lo, s18, v0
	s_wait_alu 0xfffd
	s_delay_alu instid0(VALU_DEP_2)
	v_add_co_ci_u32_e64 v1, null, s19, v1, vcc_lo
	global_store_b64 v[0:1], v[8:9], off
.LBB5_28:
	s_nop 0
	s_sendmsg sendmsg(MSG_DEALLOC_VGPRS)
	s_endpgm
	.section	.rodata,"a",@progbits
	.p2align	6, 0x0
	.amdhsa_kernel _ZL15flash_attn_tileILi192ELi128ELi1ELi16ELb0EEvPKcS1_S1_S1_S1_PKiPfP15HIP_vector_typeIfLj2EEffffjfiS5_IjLj3EEiiiiiiiiiiiliiliiiiil
		.amdhsa_group_segment_fixed_size 11776
		.amdhsa_private_segment_fixed_size 0
		.amdhsa_kernarg_size 464
		.amdhsa_user_sgpr_count 2
		.amdhsa_user_sgpr_dispatch_ptr 0
		.amdhsa_user_sgpr_queue_ptr 0
		.amdhsa_user_sgpr_kernarg_segment_ptr 1
		.amdhsa_user_sgpr_dispatch_id 0
		.amdhsa_user_sgpr_private_segment_size 0
		.amdhsa_wavefront_size32 1
		.amdhsa_uses_dynamic_stack 0
		.amdhsa_enable_private_segment 0
		.amdhsa_system_sgpr_workgroup_id_x 1
		.amdhsa_system_sgpr_workgroup_id_y 1
		.amdhsa_system_sgpr_workgroup_id_z 1
		.amdhsa_system_sgpr_workgroup_info 0
		.amdhsa_system_vgpr_workitem_id 1
		.amdhsa_next_free_vgpr 99
		.amdhsa_next_free_sgpr 43
		.amdhsa_reserve_vcc 1
		.amdhsa_float_round_mode_32 0
		.amdhsa_float_round_mode_16_64 0
		.amdhsa_float_denorm_mode_32 3
		.amdhsa_float_denorm_mode_16_64 3
		.amdhsa_fp16_overflow 0
		.amdhsa_workgroup_processor_mode 1
		.amdhsa_memory_ordered 1
		.amdhsa_forward_progress 1
		.amdhsa_inst_pref_size 65
		.amdhsa_round_robin_scheduling 0
		.amdhsa_exception_fp_ieee_invalid_op 0
		.amdhsa_exception_fp_denorm_src 0
		.amdhsa_exception_fp_ieee_div_zero 0
		.amdhsa_exception_fp_ieee_overflow 0
		.amdhsa_exception_fp_ieee_underflow 0
		.amdhsa_exception_fp_ieee_inexact 0
		.amdhsa_exception_int_div_zero 0
	.end_amdhsa_kernel
	.section	.text._ZL15flash_attn_tileILi192ELi128ELi1ELi16ELb0EEvPKcS1_S1_S1_S1_PKiPfP15HIP_vector_typeIfLj2EEffffjfiS5_IjLj3EEiiiiiiiiiiiliiliiiiil,"axG",@progbits,_ZL15flash_attn_tileILi192ELi128ELi1ELi16ELb0EEvPKcS1_S1_S1_S1_PKiPfP15HIP_vector_typeIfLj2EEffffjfiS5_IjLj3EEiiiiiiiiiiiliiliiiiil,comdat
.Lfunc_end5:
	.size	_ZL15flash_attn_tileILi192ELi128ELi1ELi16ELb0EEvPKcS1_S1_S1_S1_PKiPfP15HIP_vector_typeIfLj2EEffffjfiS5_IjLj3EEiiiiiiiiiiiliiliiiiil, .Lfunc_end5-_ZL15flash_attn_tileILi192ELi128ELi1ELi16ELb0EEvPKcS1_S1_S1_S1_PKiPfP15HIP_vector_typeIfLj2EEffffjfiS5_IjLj3EEiiiiiiiiiiiliiliiiiil
                                        ; -- End function
	.set _ZL15flash_attn_tileILi192ELi128ELi1ELi16ELb0EEvPKcS1_S1_S1_S1_PKiPfP15HIP_vector_typeIfLj2EEffffjfiS5_IjLj3EEiiiiiiiiiiiliiliiiiil.num_vgpr, 99
	.set _ZL15flash_attn_tileILi192ELi128ELi1ELi16ELb0EEvPKcS1_S1_S1_S1_PKiPfP15HIP_vector_typeIfLj2EEffffjfiS5_IjLj3EEiiiiiiiiiiiliiliiiiil.num_agpr, 0
	.set _ZL15flash_attn_tileILi192ELi128ELi1ELi16ELb0EEvPKcS1_S1_S1_S1_PKiPfP15HIP_vector_typeIfLj2EEffffjfiS5_IjLj3EEiiiiiiiiiiiliiliiiiil.numbered_sgpr, 43
	.set _ZL15flash_attn_tileILi192ELi128ELi1ELi16ELb0EEvPKcS1_S1_S1_S1_PKiPfP15HIP_vector_typeIfLj2EEffffjfiS5_IjLj3EEiiiiiiiiiiiliiliiiiil.num_named_barrier, 0
	.set _ZL15flash_attn_tileILi192ELi128ELi1ELi16ELb0EEvPKcS1_S1_S1_S1_PKiPfP15HIP_vector_typeIfLj2EEffffjfiS5_IjLj3EEiiiiiiiiiiiliiliiiiil.private_seg_size, 0
	.set _ZL15flash_attn_tileILi192ELi128ELi1ELi16ELb0EEvPKcS1_S1_S1_S1_PKiPfP15HIP_vector_typeIfLj2EEffffjfiS5_IjLj3EEiiiiiiiiiiiliiliiiiil.uses_vcc, 1
	.set _ZL15flash_attn_tileILi192ELi128ELi1ELi16ELb0EEvPKcS1_S1_S1_S1_PKiPfP15HIP_vector_typeIfLj2EEffffjfiS5_IjLj3EEiiiiiiiiiiiliiliiiiil.uses_flat_scratch, 0
	.set _ZL15flash_attn_tileILi192ELi128ELi1ELi16ELb0EEvPKcS1_S1_S1_S1_PKiPfP15HIP_vector_typeIfLj2EEffffjfiS5_IjLj3EEiiiiiiiiiiiliiliiiiil.has_dyn_sized_stack, 0
	.set _ZL15flash_attn_tileILi192ELi128ELi1ELi16ELb0EEvPKcS1_S1_S1_S1_PKiPfP15HIP_vector_typeIfLj2EEffffjfiS5_IjLj3EEiiiiiiiiiiiliiliiiiil.has_recursion, 0
	.set _ZL15flash_attn_tileILi192ELi128ELi1ELi16ELb0EEvPKcS1_S1_S1_S1_PKiPfP15HIP_vector_typeIfLj2EEffffjfiS5_IjLj3EEiiiiiiiiiiiliiliiiiil.has_indirect_call, 0
	.section	.AMDGPU.csdata,"",@progbits
; Kernel info:
; codeLenInByte = 8288
; TotalNumSgprs: 45
; NumVgprs: 99
; ScratchSize: 0
; MemoryBound: 0
; FloatMode: 240
; IeeeMode: 1
; LDSByteSize: 11776 bytes/workgroup (compile time only)
; SGPRBlocks: 0
; VGPRBlocks: 12
; NumSGPRsForWavesPerEU: 45
; NumVGPRsForWavesPerEU: 99
; Occupancy: 12
; WaveLimiterHint : 1
; COMPUTE_PGM_RSRC2:SCRATCH_EN: 0
; COMPUTE_PGM_RSRC2:USER_SGPR: 2
; COMPUTE_PGM_RSRC2:TRAP_HANDLER: 0
; COMPUTE_PGM_RSRC2:TGID_X_EN: 1
; COMPUTE_PGM_RSRC2:TGID_Y_EN: 1
; COMPUTE_PGM_RSRC2:TGID_Z_EN: 1
; COMPUTE_PGM_RSRC2:TIDIG_COMP_CNT: 1
	.section	.text._ZL25flash_attn_mask_to_KV_maxILi1EEvPK7__half2Piiii,"axG",@progbits,_ZL25flash_attn_mask_to_KV_maxILi1EEvPK7__half2Piiii,comdat
	.globl	_ZL25flash_attn_mask_to_KV_maxILi1EEvPK7__half2Piiii ; -- Begin function _ZL25flash_attn_mask_to_KV_maxILi1EEvPK7__half2Piiii
	.p2align	8
	.type	_ZL25flash_attn_mask_to_KV_maxILi1EEvPK7__half2Piiii,@function
_ZL25flash_attn_mask_to_KV_maxILi1EEvPK7__half2Piiii: ; @_ZL25flash_attn_mask_to_KV_maxILi1EEvPK7__half2Piiii
; %bb.0:
	s_load_b64 s[4:5], s[0:1], 0x0
	s_mov_b32 s2, exec_lo
	v_cmpx_gt_u32_e32 32, v0
; %bb.1:
	v_dual_mov_b32 v2, 1 :: v_dual_lshlrev_b32 v1, 2, v0
	ds_store_b32 v1, v2
; %bb.2:
	s_or_b32 exec_lo, exec_lo, s2
	s_clause 0x2
	s_load_b96 s[8:10], s[0:1], 0x10
	s_load_b64 s[2:3], s[0:1], 0x8
	s_load_b32 s1, s[0:1], 0x20
	v_dual_mov_b32 v2, 0 :: v_dual_and_b32 v1, 31, v0
	v_lshrrev_b32_e32 v3, 3, v0
	s_wait_dscnt 0x0
	s_barrier_signal -1
	s_delay_alu instid0(VALU_DEP_2)
	v_lshlrev_b32_e32 v4, 2, v1
	s_barrier_wait -1
	global_inv scope:SCOPE_SE
	s_wait_kmcnt 0x0
	s_mul_i32 s0, s10, ttmp7
	s_mul_i32 s6, s9, ttmp9
	s_delay_alu instid0(SALU_CYCLE_1) | instskip(SKIP_2) | instid1(SALU_CYCLE_1)
	s_add_co_i32 s6, s0, s6
	v_cmp_eq_u32_e64 s0, 0, v1
	s_ashr_i32 s7, s6, 31
	s_lshl_b64 s[6:7], s[6:7], 2
	s_delay_alu instid0(SALU_CYCLE_1)
	s_add_nc_u64 s[4:5], s[4:5], s[6:7]
	s_lshl_b32 s7, s8, 8
	s_branch .LBB6_4
.LBB6_3:                                ;   in Loop: Header=BB6_4 Depth=1
	s_wait_alu 0xfffe
	s_or_b32 exec_lo, exec_lo, s9
	s_wait_dscnt 0x0
	s_barrier_signal -1
	s_barrier_wait -1
	global_inv scope:SCOPE_SE
	ds_load_b32 v1, v4
	s_wait_loadcnt_dscnt 0x0
	s_barrier_signal -1
	s_barrier_wait -1
	global_inv scope:SCOPE_SE
	v_cmp_ne_u32_e32 vcc_lo, 0, v1
	s_cmp_lg_u32 vcc_lo, exec_lo
	s_cselect_b32 s8, -1, 0
	s_wait_alu 0xfffe
	s_and_b32 vcc_lo, exec_lo, s8
	s_wait_alu 0xfffe
	s_cbranch_vccnz .LBB6_8
.LBB6_4:                                ; =>This Inner Loop Header: Depth=1
	s_mov_b32 s6, s7
	s_addk_co_i32 s7, 0xff00
	s_delay_alu instid0(SALU_CYCLE_1)
	s_cmp_lt_i32 s7, 0
	s_cbranch_scc1 .LBB6_7
; %bb.5:                                ;   in Loop: Header=BB6_4 Depth=1
	s_lshr_b32 s9, s7, 1
	s_mov_b32 s8, exec_lo
	s_wait_alu 0xfffe
	v_add_nc_u32_e32 v1, s9, v0
	s_delay_alu instid0(VALU_DEP_1) | instskip(NEXT) | instid1(VALU_DEP_1)
	v_lshlrev_b64_e32 v[5:6], 2, v[1:2]
	v_add_co_u32 v5, vcc_lo, s4, v5
	s_wait_alu 0xfffd
	s_delay_alu instid0(VALU_DEP_2) | instskip(SKIP_4) | instid1(VALU_DEP_2)
	v_add_co_ci_u32_e64 v6, null, s5, v6, vcc_lo
	global_load_b32 v1, v[5:6], off
	s_wait_loadcnt 0x0
	v_lshrrev_b32_e32 v5, 16, v1
	v_cmp_class_f16_e64 s9, v1, 0x204
	v_cmp_class_f16_e64 s10, v5, 0x204
	s_and_b32 s9, s9, s10
	s_wait_alu 0xfffe
	v_cndmask_b32_e64 v1, 0, 1, s9
	s_delay_alu instid0(VALU_DEP_1)
	v_cmp_ne_u32_e32 vcc_lo, 0, v1
	s_and_saveexec_b32 s9, s0
	s_cbranch_execz .LBB6_3
; %bb.6:                                ;   in Loop: Header=BB6_4 Depth=1
	s_cmp_eq_u32 vcc_lo, s8
	s_cselect_b32 s8, -1, 0
	s_wait_alu 0xfffe
	v_cndmask_b32_e64 v1, 0, 1, s8
	ds_store_b32 v3, v1
	s_branch .LBB6_3
.LBB6_7:                                ;   in Loop: Header=BB6_4 Depth=1
	s_cbranch_execz .LBB6_4
.LBB6_8:
	s_mov_b32 s0, exec_lo
	v_cmpx_eq_u32_e32 0, v0
	s_cbranch_execz .LBB6_10
; %bb.9:
	s_mul_i32 s0, s1, ttmp7
	v_dual_mov_b32 v0, 0 :: v_dual_mov_b32 v1, s6
	s_add_co_i32 s0, s0, ttmp9
	s_delay_alu instid0(SALU_CYCLE_1) | instskip(NEXT) | instid1(SALU_CYCLE_1)
	s_ashr_i32 s1, s0, 31
	s_lshl_b64 s[0:1], s[0:1], 2
	s_delay_alu instid0(SALU_CYCLE_1)
	s_add_nc_u64 s[0:1], s[2:3], s[0:1]
	global_store_b32 v0, v1, s[0:1]
.LBB6_10:
	s_endpgm
	.section	.rodata,"a",@progbits
	.p2align	6, 0x0
	.amdhsa_kernel _ZL25flash_attn_mask_to_KV_maxILi1EEvPK7__half2Piiii
		.amdhsa_group_segment_fixed_size 128
		.amdhsa_private_segment_fixed_size 0
		.amdhsa_kernarg_size 288
		.amdhsa_user_sgpr_count 2
		.amdhsa_user_sgpr_dispatch_ptr 0
		.amdhsa_user_sgpr_queue_ptr 0
		.amdhsa_user_sgpr_kernarg_segment_ptr 1
		.amdhsa_user_sgpr_dispatch_id 0
		.amdhsa_user_sgpr_private_segment_size 0
		.amdhsa_wavefront_size32 1
		.amdhsa_uses_dynamic_stack 0
		.amdhsa_enable_private_segment 0
		.amdhsa_system_sgpr_workgroup_id_x 1
		.amdhsa_system_sgpr_workgroup_id_y 1
		.amdhsa_system_sgpr_workgroup_id_z 0
		.amdhsa_system_sgpr_workgroup_info 0
		.amdhsa_system_vgpr_workitem_id 0
		.amdhsa_next_free_vgpr 7
		.amdhsa_next_free_sgpr 11
		.amdhsa_reserve_vcc 1
		.amdhsa_float_round_mode_32 0
		.amdhsa_float_round_mode_16_64 0
		.amdhsa_float_denorm_mode_32 3
		.amdhsa_float_denorm_mode_16_64 3
		.amdhsa_fp16_overflow 0
		.amdhsa_workgroup_processor_mode 1
		.amdhsa_memory_ordered 1
		.amdhsa_forward_progress 1
		.amdhsa_inst_pref_size 4
		.amdhsa_round_robin_scheduling 0
		.amdhsa_exception_fp_ieee_invalid_op 0
		.amdhsa_exception_fp_denorm_src 0
		.amdhsa_exception_fp_ieee_div_zero 0
		.amdhsa_exception_fp_ieee_overflow 0
		.amdhsa_exception_fp_ieee_underflow 0
		.amdhsa_exception_fp_ieee_inexact 0
		.amdhsa_exception_int_div_zero 0
	.end_amdhsa_kernel
	.section	.text._ZL25flash_attn_mask_to_KV_maxILi1EEvPK7__half2Piiii,"axG",@progbits,_ZL25flash_attn_mask_to_KV_maxILi1EEvPK7__half2Piiii,comdat
.Lfunc_end6:
	.size	_ZL25flash_attn_mask_to_KV_maxILi1EEvPK7__half2Piiii, .Lfunc_end6-_ZL25flash_attn_mask_to_KV_maxILi1EEvPK7__half2Piiii
                                        ; -- End function
	.set _ZL25flash_attn_mask_to_KV_maxILi1EEvPK7__half2Piiii.num_vgpr, 7
	.set _ZL25flash_attn_mask_to_KV_maxILi1EEvPK7__half2Piiii.num_agpr, 0
	.set _ZL25flash_attn_mask_to_KV_maxILi1EEvPK7__half2Piiii.numbered_sgpr, 11
	.set _ZL25flash_attn_mask_to_KV_maxILi1EEvPK7__half2Piiii.num_named_barrier, 0
	.set _ZL25flash_attn_mask_to_KV_maxILi1EEvPK7__half2Piiii.private_seg_size, 0
	.set _ZL25flash_attn_mask_to_KV_maxILi1EEvPK7__half2Piiii.uses_vcc, 1
	.set _ZL25flash_attn_mask_to_KV_maxILi1EEvPK7__half2Piiii.uses_flat_scratch, 0
	.set _ZL25flash_attn_mask_to_KV_maxILi1EEvPK7__half2Piiii.has_dyn_sized_stack, 0
	.set _ZL25flash_attn_mask_to_KV_maxILi1EEvPK7__half2Piiii.has_recursion, 0
	.set _ZL25flash_attn_mask_to_KV_maxILi1EEvPK7__half2Piiii.has_indirect_call, 0
	.section	.AMDGPU.csdata,"",@progbits
; Kernel info:
; codeLenInByte = 496
; TotalNumSgprs: 13
; NumVgprs: 7
; ScratchSize: 0
; MemoryBound: 0
; FloatMode: 240
; IeeeMode: 1
; LDSByteSize: 128 bytes/workgroup (compile time only)
; SGPRBlocks: 0
; VGPRBlocks: 0
; NumSGPRsForWavesPerEU: 13
; NumVGPRsForWavesPerEU: 7
; Occupancy: 16
; WaveLimiterHint : 0
; COMPUTE_PGM_RSRC2:SCRATCH_EN: 0
; COMPUTE_PGM_RSRC2:USER_SGPR: 2
; COMPUTE_PGM_RSRC2:TRAP_HANDLER: 0
; COMPUTE_PGM_RSRC2:TGID_X_EN: 1
; COMPUTE_PGM_RSRC2:TGID_Y_EN: 1
; COMPUTE_PGM_RSRC2:TGID_Z_EN: 0
; COMPUTE_PGM_RSRC2:TIDIG_COMP_CNT: 0
	.section	.text._ZL33flash_attn_stream_k_fixup_uniformILi128ELi1ELi16EEvPfPK15HIP_vector_typeIfLj2EEiiiiiiS1_IjLj3EES5_S5_,"axG",@progbits,_ZL33flash_attn_stream_k_fixup_uniformILi128ELi1ELi16EEvPfPK15HIP_vector_typeIfLj2EEiiiiiiS1_IjLj3EES5_S5_,comdat
	.globl	_ZL33flash_attn_stream_k_fixup_uniformILi128ELi1ELi16EEvPfPK15HIP_vector_typeIfLj2EEiiiiiiS1_IjLj3EES5_S5_ ; -- Begin function _ZL33flash_attn_stream_k_fixup_uniformILi128ELi1ELi16EEvPfPK15HIP_vector_typeIfLj2EEiiiiiiS1_IjLj3EES5_S5_
	.p2align	8
	.type	_ZL33flash_attn_stream_k_fixup_uniformILi128ELi1ELi16EEvPfPK15HIP_vector_typeIfLj2EEiiiiiiS1_IjLj3EES5_S5_,@function
_ZL33flash_attn_stream_k_fixup_uniformILi128ELi1ELi16EEvPfPK15HIP_vector_typeIfLj2EEiiiiiiS1_IjLj3EES5_S5_: ; @_ZL33flash_attn_stream_k_fixup_uniformILi128ELi1ELi16EEvPfPK15HIP_vector_typeIfLj2EEiiiiiiS1_IjLj3EES5_S5_
; %bb.0:
	s_clause 0x1
	s_load_b256 s[4:11], s[0:1], 0x1c
	s_load_b128 s[16:19], s[0:1], 0x3c
	s_wait_kmcnt 0x0
	s_mul_hi_u32 s2, s7, ttmp9
	s_delay_alu instid0(SALU_CYCLE_1) | instskip(NEXT) | instid1(SALU_CYCLE_1)
	s_add_co_i32 s2, ttmp9, s2
	s_lshr_b32 s12, s2, s8
	s_delay_alu instid0(SALU_CYCLE_1) | instskip(SKIP_2) | instid1(SALU_CYCLE_1)
	s_mul_i32 s2, s12, s9
	s_load_b64 s[8:9], s[0:1], 0x10
	s_sub_co_i32 s2, ttmp9, s2
	s_mul_hi_u32 s3, s2, s10
	s_and_b32 s10, ttmp7, 0xffff
	s_add_co_i32 s3, s2, s3
	s_delay_alu instid0(SALU_CYCLE_1) | instskip(NEXT) | instid1(SALU_CYCLE_1)
	s_lshr_b32 s11, s3, s11
	s_mul_i32 s3, s11, s16
	s_delay_alu instid0(SALU_CYCLE_1) | instskip(NEXT) | instid1(SALU_CYCLE_1)
	s_sub_co_i32 s2, s2, s3
	s_mul_hi_u32 s3, s2, s17
	s_delay_alu instid0(SALU_CYCLE_1) | instskip(NEXT) | instid1(SALU_CYCLE_1)
	s_add_co_i32 s3, s2, s3
	s_lshr_b32 s3, s3, s18
	s_delay_alu instid0(SALU_CYCLE_1)
	s_mul_i32 s7, s3, s19
	s_lshl_b32 s14, s3, 4
	s_sub_co_i32 s13, s2, s7
	s_lshr_b32 s7, ttmp7, 16
	s_add_co_i32 s13, s13, s10
	s_wait_kmcnt 0x0
	s_cmp_lt_i32 s13, s8
	s_cselect_b32 s2, -1, 0
	s_add_co_i32 s14, s14, s7
	s_delay_alu instid0(SALU_CYCLE_1) | instskip(SKIP_1) | instid1(SALU_CYCLE_1)
	s_cmp_lt_i32 s14, s5
	s_cselect_b32 s3, -1, 0
	s_and_b32 s2, s2, s3
	s_delay_alu instid0(SALU_CYCLE_1)
	s_and_not1_b32 vcc_lo, exec_lo, s2
	s_cbranch_vccnz .LBB7_6
; %bb.1:
	s_mul_i32 s12, s12, s8
	s_mul_i32 s11, s11, s5
	s_add_co_i32 s5, s13, s12
	s_load_b128 s[0:3], s[0:1], 0x0
	s_add_co_i32 s8, s14, s11
	s_mul_i32 s5, s5, s9
	s_delay_alu instid0(SALU_CYCLE_1) | instskip(NEXT) | instid1(SALU_CYCLE_1)
	s_add_co_i32 s8, s8, s5
	v_lshl_or_b32 v1, s8, 7, v0
	s_mul_i32 s8, s6, ttmp9
	s_wait_alu 0xfffe
	s_add_co_i32 s9, s8, s6
	s_delay_alu instid0(VALU_DEP_1) | instskip(SKIP_2) | instid1(VALU_DEP_1)
	v_ashrrev_i32_e32 v2, 31, v1
	s_wait_alu 0xfffe
	s_add_co_i32 s5, s9, -2
	v_lshlrev_b64_e32 v[1:2], 2, v[1:2]
	s_wait_kmcnt 0x0
	s_delay_alu instid0(VALU_DEP_1) | instskip(NEXT) | instid1(VALU_DEP_1)
	v_add_co_u32 v1, vcc_lo, s0, v1
	v_add_co_ci_u32_e64 v2, null, s1, v2, vcc_lo
	s_add_co_i32 s0, s10, s9
	s_wait_alu 0xfffe
	s_lshl_b32 s0, s0, 4
	global_load_b32 v5, v[1:2], off
	s_wait_alu 0xfffe
	s_add_co_i32 s0, s0, s7
	s_wait_alu 0xfffe
	s_add_co_i32 s0, s0, -16
	s_wait_alu 0xfffe
	s_ashr_i32 s1, s0, 31
	s_wait_alu 0xfffe
	s_lshl_b64 s[0:1], s[0:1], 3
	s_cmp_lt_i32 s5, s8
	s_wait_alu 0xfffe
	s_add_nc_u64 s[0:1], s[2:3], s[0:1]
	s_load_b32 s11, s[0:1], 0x4
	s_cbranch_scc1 .LBB7_4
; %bb.2:
	s_load_b32 s0, s[0:1], 0x0
	s_add_co_i32 s1, ttmp9, 1
	s_lshl_b32 s5, s7, 7
	s_wait_alu 0xfffe
	s_mul_i32 s1, s6, s1
	s_lshl_b32 s6, s10, 11
	s_wait_alu 0xfffe
	s_lshl_b32 s1, s1, 11
	s_add_co_i32 s5, s5, s6
	s_lshl_b32 s12, s4, 6
	s_wait_alu 0xfffe
	s_add_co_i32 s5, s5, s1
	s_add_co_i32 s1, s10, s4
	v_or_b32_e32 v0, s5, v0
	s_wait_alu 0xfffe
	s_add_co_i32 s1, s1, s9
	s_ashr_i32 s13, s12, 31
	s_wait_alu 0xfffe
	s_lshl_b32 s1, s1, 4
	s_wait_kmcnt 0x0
	v_dual_mov_b32 v6, s11 :: v_dual_add_nc_u32 v3, 0xfffff000, v0
	s_lshl_b64 s[4:5], s[12:13], 2
	s_wait_alu 0xfffe
	s_add_co_i32 s7, s7, s1
	s_add_nc_u64 s[4:5], s[2:3], s[4:5]
	s_add_co_i32 s1, s9, -1
	s_sub_co_i32 s6, s7, 32
.LBB7_3:                                ; =>This Inner Loop Header: Depth=1
	v_ashrrev_i32_e32 v4, 31, v3
	s_ashr_i32 s7, s6, 31
	v_mov_b32_e32 v10, v6
	s_lshl_b64 s[10:11], s[6:7], 3
	s_wait_loadcnt 0x0
	v_mov_b32_e32 v9, v5
	v_lshlrev_b64_e32 v[7:8], 2, v[3:4]
	s_wait_alu 0xfffe
	s_add_nc_u64 s[10:11], s[2:3], s[10:11]
	v_max_num_f32_e64 v4, s0, s0
	s_load_b64 s[10:11], s[10:11], 0x0
	v_add_nc_u32_e32 v3, 0xfffff800, v3
	v_add_co_u32 v7, vcc_lo, s4, v7
	s_wait_alu 0xfffd
	v_add_co_ci_u32_e64 v8, null, s5, v8, vcc_lo
	v_readfirstlane_b32 s7, v4
	global_load_b32 v0, v[7:8], off
	s_wait_kmcnt 0x0
	v_max_num_f32_e64 v4, s10, s10
	s_delay_alu instid0(VALU_DEP_1) | instskip(SKIP_1) | instid1(SALU_CYCLE_3)
	v_readfirstlane_b32 s9, v4
	s_max_num_f32 s7, s7, s9
	s_sub_f32 s0, s0, s7
	s_sub_f32 s9, s10, s7
	s_wait_alu 0xfffe
	s_delay_alu instid0(SALU_CYCLE_1) | instskip(NEXT) | instid1(SALU_CYCLE_1)
	s_mul_f32 s10, s0, 0x3fb8aa3b
	s_mul_f32 s12, s9, 0x3fb8aa3b
	s_wait_alu 0xfffe
	s_delay_alu instid0(SALU_CYCLE_1)
	s_xor_b32 s13, s10, 0x80000000
	s_rndne_f32 s14, s10
	s_fmamk_f32 s13, s0, 0x3fb8aa3b, s13
	s_cmp_nlt_f32 s0, 0xc2ce8ed0
	s_rndne_f32 s15, s12
	s_wait_alu 0xfffe
	s_sub_f32 s10, s10, s14
	s_fmamk_f32 s13, s0, 0x32a5705f, s13
	s_cvt_i32_f32 s14, s14
	s_cselect_b32 vcc_lo, -1, 0
	s_cmp_ngt_f32 s0, 0x42b17218
	s_wait_alu 0xfffe
	s_add_f32 s10, s10, s13
	s_sub_f32 s13, s12, s15
	s_wait_alu 0xfffe
	s_delay_alu instid0(SALU_CYCLE_1) | instskip(SKIP_1) | instid1(TRANS32_DEP_1)
	v_s_exp_f32 s10, s10
	s_wait_alu 0xf1ff
	v_ldexp_f32 v4, s10, s14
	s_cvt_i32_f32 s10, s15
	s_delay_alu instid0(VALU_DEP_1) | instskip(SKIP_3) | instid1(VALU_DEP_1)
	v_cndmask_b32_e32 v4, 0, v4, vcc_lo
	s_cselect_b32 vcc_lo, -1, 0
	s_cmp_ge_f32 s0, 0xc1a00000
	s_wait_alu 0xfffe
	v_cndmask_b32_e32 v4, 0x7f800000, v4, vcc_lo
	s_cselect_b32 vcc_lo, -1, 0
	s_xor_b32 s0, s12, 0x80000000
	s_cmp_nlt_f32 s9, 0xc2ce8ed0
	s_wait_alu 0xfffe
	s_fmamk_f32 s0, s9, 0x3fb8aa3b, s0
	s_wait_alu 0xfffe
	s_delay_alu instid0(SALU_CYCLE_2) | instskip(SKIP_1) | instid1(SALU_CYCLE_2)
	s_fmamk_f32 s0, s9, 0x32a5705f, s0
	s_wait_alu 0xfffe
	s_add_f32 s0, s13, s0
	s_wait_alu 0xfffe
	s_delay_alu instid0(SALU_CYCLE_2) | instskip(SKIP_1) | instid1(TRANS32_DEP_1)
	v_s_exp_f32 s0, s0
	s_wait_alu 0xf1ff
	v_ldexp_f32 v7, s0, s10
	s_cselect_b32 s0, -1, 0
	s_cmp_ngt_f32 s9, 0x42b17218
	s_wait_alu 0xfffe
	s_delay_alu instid0(VALU_DEP_1) | instskip(SKIP_3) | instid1(VALU_DEP_1)
	v_cndmask_b32_e64 v7, 0, v7, s0
	s_cselect_b32 s0, -1, 0
	s_cmp_ge_f32 s9, 0xc1a00000
	s_wait_alu 0xfffe
	v_cndmask_b32_e64 v7, 0x7f800000, v7, s0
	s_cselect_b32 s0, -1, 0
	s_add_co_i32 s1, s1, -1
	s_add_co_i32 s6, s6, -16
	s_wait_alu 0xfffe
	s_cmp_le_i32 s1, s8
	v_cndmask_b32_e64 v7, 0, v7, s0
	s_mov_b32 s0, s7
	s_wait_loadcnt 0x0
	s_delay_alu instid0(VALU_DEP_1) | instskip(NEXT) | instid1(VALU_DEP_1)
	v_dual_mul_f32 v5, v0, v7 :: v_dual_cndmask_b32 v4, 0, v4
	v_dual_mul_f32 v8, s11, v7 :: v_dual_fmac_f32 v5, v9, v4
	s_delay_alu instid0(VALU_DEP_1) | instskip(NEXT) | instid1(VALU_DEP_1)
	v_mov_b32_e32 v6, v8
	v_fmac_f32_e32 v6, v10, v4
	s_cbranch_scc0 .LBB7_3
	s_branch .LBB7_5
.LBB7_4:
	s_wait_kmcnt 0x0
	v_mov_b32_e32 v6, s11
.LBB7_5:
	s_wait_loadcnt 0x0
	s_delay_alu instid0(VALU_DEP_1) | instskip(NEXT) | instid1(VALU_DEP_1)
	v_div_scale_f32 v0, null, v6, v6, v5
	v_rcp_f32_e32 v3, v0
	s_delay_alu instid0(TRANS32_DEP_1) | instskip(NEXT) | instid1(VALU_DEP_1)
	v_fma_f32 v4, -v0, v3, 1.0
	v_fmac_f32_e32 v3, v4, v3
	v_div_scale_f32 v4, vcc_lo, v5, v6, v5
	s_delay_alu instid0(VALU_DEP_1) | instskip(NEXT) | instid1(VALU_DEP_1)
	v_mul_f32_e32 v7, v4, v3
	v_fma_f32 v8, -v0, v7, v4
	s_delay_alu instid0(VALU_DEP_1) | instskip(NEXT) | instid1(VALU_DEP_1)
	v_fmac_f32_e32 v7, v8, v3
	v_fma_f32 v0, -v0, v7, v4
	s_wait_alu 0xfffd
	s_delay_alu instid0(VALU_DEP_1) | instskip(NEXT) | instid1(VALU_DEP_1)
	v_div_fmas_f32 v0, v0, v3, v7
	v_div_fixup_f32 v0, v0, v6, v5
	global_store_b32 v[1:2], v0, off
.LBB7_6:
	s_endpgm
	.section	.rodata,"a",@progbits
	.p2align	6, 0x0
	.amdhsa_kernel _ZL33flash_attn_stream_k_fixup_uniformILi128ELi1ELi16EEvPfPK15HIP_vector_typeIfLj2EEiiiiiiS1_IjLj3EES5_S5_
		.amdhsa_group_segment_fixed_size 0
		.amdhsa_private_segment_fixed_size 0
		.amdhsa_kernarg_size 76
		.amdhsa_user_sgpr_count 2
		.amdhsa_user_sgpr_dispatch_ptr 0
		.amdhsa_user_sgpr_queue_ptr 0
		.amdhsa_user_sgpr_kernarg_segment_ptr 1
		.amdhsa_user_sgpr_dispatch_id 0
		.amdhsa_user_sgpr_private_segment_size 0
		.amdhsa_wavefront_size32 1
		.amdhsa_uses_dynamic_stack 0
		.amdhsa_enable_private_segment 0
		.amdhsa_system_sgpr_workgroup_id_x 1
		.amdhsa_system_sgpr_workgroup_id_y 1
		.amdhsa_system_sgpr_workgroup_id_z 1
		.amdhsa_system_sgpr_workgroup_info 0
		.amdhsa_system_vgpr_workitem_id 0
		.amdhsa_next_free_vgpr 11
		.amdhsa_next_free_sgpr 20
		.amdhsa_reserve_vcc 1
		.amdhsa_float_round_mode_32 0
		.amdhsa_float_round_mode_16_64 0
		.amdhsa_float_denorm_mode_32 3
		.amdhsa_float_denorm_mode_16_64 3
		.amdhsa_fp16_overflow 0
		.amdhsa_workgroup_processor_mode 1
		.amdhsa_memory_ordered 1
		.amdhsa_forward_progress 1
		.amdhsa_inst_pref_size 9
		.amdhsa_round_robin_scheduling 0
		.amdhsa_exception_fp_ieee_invalid_op 0
		.amdhsa_exception_fp_denorm_src 0
		.amdhsa_exception_fp_ieee_div_zero 0
		.amdhsa_exception_fp_ieee_overflow 0
		.amdhsa_exception_fp_ieee_underflow 0
		.amdhsa_exception_fp_ieee_inexact 0
		.amdhsa_exception_int_div_zero 0
	.end_amdhsa_kernel
	.section	.text._ZL33flash_attn_stream_k_fixup_uniformILi128ELi1ELi16EEvPfPK15HIP_vector_typeIfLj2EEiiiiiiS1_IjLj3EES5_S5_,"axG",@progbits,_ZL33flash_attn_stream_k_fixup_uniformILi128ELi1ELi16EEvPfPK15HIP_vector_typeIfLj2EEiiiiiiS1_IjLj3EES5_S5_,comdat
.Lfunc_end7:
	.size	_ZL33flash_attn_stream_k_fixup_uniformILi128ELi1ELi16EEvPfPK15HIP_vector_typeIfLj2EEiiiiiiS1_IjLj3EES5_S5_, .Lfunc_end7-_ZL33flash_attn_stream_k_fixup_uniformILi128ELi1ELi16EEvPfPK15HIP_vector_typeIfLj2EEiiiiiiS1_IjLj3EES5_S5_
                                        ; -- End function
	.set _ZL33flash_attn_stream_k_fixup_uniformILi128ELi1ELi16EEvPfPK15HIP_vector_typeIfLj2EEiiiiiiS1_IjLj3EES5_S5_.num_vgpr, 11
	.set _ZL33flash_attn_stream_k_fixup_uniformILi128ELi1ELi16EEvPfPK15HIP_vector_typeIfLj2EEiiiiiiS1_IjLj3EES5_S5_.num_agpr, 0
	.set _ZL33flash_attn_stream_k_fixup_uniformILi128ELi1ELi16EEvPfPK15HIP_vector_typeIfLj2EEiiiiiiS1_IjLj3EES5_S5_.numbered_sgpr, 20
	.set _ZL33flash_attn_stream_k_fixup_uniformILi128ELi1ELi16EEvPfPK15HIP_vector_typeIfLj2EEiiiiiiS1_IjLj3EES5_S5_.num_named_barrier, 0
	.set _ZL33flash_attn_stream_k_fixup_uniformILi128ELi1ELi16EEvPfPK15HIP_vector_typeIfLj2EEiiiiiiS1_IjLj3EES5_S5_.private_seg_size, 0
	.set _ZL33flash_attn_stream_k_fixup_uniformILi128ELi1ELi16EEvPfPK15HIP_vector_typeIfLj2EEiiiiiiS1_IjLj3EES5_S5_.uses_vcc, 1
	.set _ZL33flash_attn_stream_k_fixup_uniformILi128ELi1ELi16EEvPfPK15HIP_vector_typeIfLj2EEiiiiiiS1_IjLj3EES5_S5_.uses_flat_scratch, 0
	.set _ZL33flash_attn_stream_k_fixup_uniformILi128ELi1ELi16EEvPfPK15HIP_vector_typeIfLj2EEiiiiiiS1_IjLj3EES5_S5_.has_dyn_sized_stack, 0
	.set _ZL33flash_attn_stream_k_fixup_uniformILi128ELi1ELi16EEvPfPK15HIP_vector_typeIfLj2EEiiiiiiS1_IjLj3EES5_S5_.has_recursion, 0
	.set _ZL33flash_attn_stream_k_fixup_uniformILi128ELi1ELi16EEvPfPK15HIP_vector_typeIfLj2EEiiiiiiS1_IjLj3EES5_S5_.has_indirect_call, 0
	.section	.AMDGPU.csdata,"",@progbits
; Kernel info:
; codeLenInByte = 1120
; TotalNumSgprs: 22
; NumVgprs: 11
; ScratchSize: 0
; MemoryBound: 0
; FloatMode: 240
; IeeeMode: 1
; LDSByteSize: 0 bytes/workgroup (compile time only)
; SGPRBlocks: 0
; VGPRBlocks: 1
; NumSGPRsForWavesPerEU: 22
; NumVGPRsForWavesPerEU: 11
; Occupancy: 16
; WaveLimiterHint : 0
; COMPUTE_PGM_RSRC2:SCRATCH_EN: 0
; COMPUTE_PGM_RSRC2:USER_SGPR: 2
; COMPUTE_PGM_RSRC2:TRAP_HANDLER: 0
; COMPUTE_PGM_RSRC2:TGID_X_EN: 1
; COMPUTE_PGM_RSRC2:TGID_Y_EN: 1
; COMPUTE_PGM_RSRC2:TGID_Z_EN: 1
; COMPUTE_PGM_RSRC2:TIDIG_COMP_CNT: 0
	.section	.text._ZL33flash_attn_stream_k_fixup_generalILi128ELi1ELi16EEvPfPK15HIP_vector_typeIfLj2EEiiiiS1_IjLj3EES5_S5_S5_,"axG",@progbits,_ZL33flash_attn_stream_k_fixup_generalILi128ELi1ELi16EEvPfPK15HIP_vector_typeIfLj2EEiiiiS1_IjLj3EES5_S5_S5_,comdat
	.globl	_ZL33flash_attn_stream_k_fixup_generalILi128ELi1ELi16EEvPfPK15HIP_vector_typeIfLj2EEiiiiS1_IjLj3EES5_S5_S5_ ; -- Begin function _ZL33flash_attn_stream_k_fixup_generalILi128ELi1ELi16EEvPfPK15HIP_vector_typeIfLj2EEiiiiS1_IjLj3EES5_S5_S5_
	.p2align	8
	.type	_ZL33flash_attn_stream_k_fixup_generalILi128ELi1ELi16EEvPfPK15HIP_vector_typeIfLj2EEiiiiS1_IjLj3EES5_S5_S5_,@function
_ZL33flash_attn_stream_k_fixup_generalILi128ELi1ELi16EEvPfPK15HIP_vector_typeIfLj2EEiiiiS1_IjLj3EES5_S5_S5_: ; @_ZL33flash_attn_stream_k_fixup_generalILi128ELi1ELi16EEvPfPK15HIP_vector_typeIfLj2EEiiiiS1_IjLj3EES5_S5_S5_
; %bb.0:
	s_clause 0x1
	s_load_b128 s[4:7], s[0:1], 0x10
	s_load_b32 s16, s[0:1], 0x50
	s_mov_b32 s2, ttmp9
	s_ashr_i32 s3, ttmp9, 31
	s_mov_b32 s17, 0
	s_delay_alu instid0(SALU_CYCLE_1) | instskip(SKIP_3) | instid1(SALU_CYCLE_1)
	s_mov_b32 s8, s17
	s_wait_kmcnt 0x0
	s_ashr_i32 s19, s7, 31
	s_mov_b32 s18, s7
	s_mul_u64 s[2:3], s[18:19], s[2:3]
	s_delay_alu instid0(SALU_CYCLE_1) | instskip(NEXT) | instid1(SALU_CYCLE_1)
	s_mov_b32 s9, s3
	s_cmp_lg_u64 s[8:9], 0
	s_cbranch_scc0 .LBB8_21
; %bb.1:
	s_add_nc_u64 s[8:9], s[16:17], 0
	s_mov_b32 s15, s17
	s_xor_b64 s[8:9], s[8:9], 0
	s_mov_b32 s23, s17
	s_cvt_f32_u32 s7, s8
	s_cvt_f32_u32 s10, s9
	s_sub_nc_u64 s[12:13], 0, s[8:9]
	s_delay_alu instid0(SALU_CYCLE_2) | instskip(NEXT) | instid1(SALU_CYCLE_3)
	s_fmamk_f32 s7, s10, 0x4f800000, s7
	v_s_rcp_f32 s7, s7
	s_delay_alu instid0(TRANS32_DEP_1) | instskip(SKIP_1) | instid1(SALU_CYCLE_2)
	s_mul_f32 s7, s7, 0x5f7ffffc
	s_wait_alu 0xfffe
	s_mul_f32 s10, s7, 0x2f800000
	s_delay_alu instid0(SALU_CYCLE_3) | instskip(NEXT) | instid1(SALU_CYCLE_3)
	s_trunc_f32 s10, s10
	s_fmamk_f32 s7, s10, 0xcf800000, s7
	s_cvt_u32_f32 s11, s10
	s_wait_alu 0xfffe
	s_delay_alu instid0(SALU_CYCLE_1) | instskip(NEXT) | instid1(SALU_CYCLE_3)
	s_cvt_u32_f32 s10, s7
	s_mul_u64 s[20:21], s[12:13], s[10:11]
	s_delay_alu instid0(SALU_CYCLE_1)
	s_mul_hi_u32 s25, s10, s21
	s_mul_i32 s24, s10, s21
	s_mul_hi_u32 s14, s10, s20
	s_mul_i32 s22, s11, s20
	s_add_nc_u64 s[14:15], s[14:15], s[24:25]
	s_mul_hi_u32 s7, s11, s20
	s_mul_hi_u32 s26, s11, s21
	s_add_co_u32 s14, s14, s22
	s_wait_alu 0xfffe
	s_add_co_ci_u32 s22, s15, s7
	s_mul_i32 s20, s11, s21
	s_add_co_ci_u32 s21, s26, 0
	s_delay_alu instid0(SALU_CYCLE_1)
	s_add_nc_u64 s[14:15], s[22:23], s[20:21]
	s_mov_b32 s21, s17
	s_add_co_u32 s10, s10, s14
	s_cselect_b32 s7, -1, 0
	s_wait_alu 0xfffe
	s_cmp_lg_u32 s7, 0
	s_add_co_ci_u32 s11, s11, s15
	s_mov_b32 s15, s17
	s_mul_u64 s[12:13], s[12:13], s[10:11]
	s_delay_alu instid0(SALU_CYCLE_1)
	s_mul_hi_u32 s23, s10, s13
	s_mul_i32 s22, s10, s13
	s_mul_hi_u32 s14, s10, s12
	s_mul_i32 s20, s11, s12
	s_add_nc_u64 s[14:15], s[14:15], s[22:23]
	s_mul_hi_u32 s7, s11, s12
	s_mul_hi_u32 s24, s11, s13
	s_mul_i32 s12, s11, s13
	s_add_co_u32 s13, s14, s20
	s_wait_alu 0xfffe
	s_add_co_ci_u32 s20, s15, s7
	s_add_co_ci_u32 s13, s24, 0
	s_mov_b32 s15, s17
	s_add_nc_u64 s[12:13], s[20:21], s[12:13]
	s_delay_alu instid0(SALU_CYCLE_1) | instskip(SKIP_1) | instid1(SALU_CYCLE_1)
	s_add_co_u32 s7, s10, s12
	s_cselect_b32 s10, -1, 0
	s_cmp_lg_u32 s10, 0
	s_add_co_ci_u32 s20, s11, s13
	s_ashr_i32 s10, s3, 31
	s_delay_alu instid0(SALU_CYCLE_1) | instskip(NEXT) | instid1(SALU_CYCLE_1)
	s_mov_b32 s11, s10
	s_add_nc_u64 s[12:13], s[2:3], s[10:11]
	s_delay_alu instid0(SALU_CYCLE_1) | instskip(NEXT) | instid1(SALU_CYCLE_1)
	s_xor_b64 s[12:13], s[12:13], s[10:11]
	s_mul_hi_u32 s23, s12, s20
	s_mul_i32 s22, s12, s20
	s_wait_alu 0xfffe
	s_mul_hi_u32 s14, s12, s7
	s_mul_hi_u32 s24, s13, s7
	s_mul_i32 s7, s13, s7
	s_add_nc_u64 s[14:15], s[14:15], s[22:23]
	s_mul_hi_u32 s3, s13, s20
	s_wait_alu 0xfffe
	s_add_co_u32 s7, s14, s7
	s_mul_i32 s22, s13, s20
	s_add_co_ci_u32 s20, s15, s24
	s_add_co_ci_u32 s23, s3, 0
	s_delay_alu instid0(SALU_CYCLE_1) | instskip(NEXT) | instid1(SALU_CYCLE_1)
	s_add_nc_u64 s[14:15], s[20:21], s[22:23]
	s_mul_u64 s[20:21], s[8:9], s[14:15]
	s_delay_alu instid0(SALU_CYCLE_1)
	s_sub_co_u32 s3, s12, s20
	s_cselect_b32 s7, -1, 0
	s_sub_co_i32 s12, s13, s21
	s_wait_alu 0xfffe
	s_cmp_lg_u32 s7, 0
	s_sub_co_ci_u32 s12, s12, s9
	s_sub_co_u32 s20, s3, s8
	s_cselect_b32 s22, -1, 0
	s_delay_alu instid0(SALU_CYCLE_1) | instskip(SKIP_2) | instid1(SALU_CYCLE_1)
	s_cmp_lg_u32 s22, 0
	s_add_nc_u64 s[22:23], s[14:15], 1
	s_sub_co_ci_u32 s12, s12, 0
	s_cmp_ge_u32 s12, s9
	s_cselect_b32 s24, -1, 0
	s_cmp_ge_u32 s20, s8
	s_cselect_b32 s20, -1, 0
	s_cmp_eq_u32 s12, s9
	s_cselect_b32 s12, s20, s24
	s_add_nc_u64 s[24:25], s[14:15], 2
	s_cmp_lg_u32 s12, 0
	s_cselect_b32 s12, s24, s22
	s_cselect_b32 s20, s25, s23
	s_cmp_lg_u32 s7, 0
	s_sub_co_ci_u32 s7, s13, s21
	s_wait_alu 0xfffe
	s_cmp_ge_u32 s7, s9
	s_cselect_b32 s13, -1, 0
	s_cmp_ge_u32 s3, s8
	s_cselect_b32 s3, -1, 0
	s_cmp_eq_u32 s7, s9
	s_cselect_b32 s3, s3, s13
	s_delay_alu instid0(SALU_CYCLE_1) | instskip(SKIP_4) | instid1(SALU_CYCLE_1)
	s_cmp_lg_u32 s3, 0
	s_mov_b32 s3, s17
	s_cselect_b32 s9, s20, s15
	s_cselect_b32 s8, s12, s14
	s_xor_b64 s[10:11], s[10:11], 0
	s_xor_b64 s[8:9], s[8:9], s[10:11]
	s_delay_alu instid0(SALU_CYCLE_1)
	s_sub_nc_u64 s[20:21], s[8:9], s[10:11]
	s_and_not1_b32 vcc_lo, exec_lo, s3
	s_cbranch_vccnz .LBB8_3
.LBB8_2:
	v_cvt_f32_u32_e32 v1, s16
	s_sub_co_i32 s7, 0, s16
	s_delay_alu instid0(VALU_DEP_1) | instskip(NEXT) | instid1(TRANS32_DEP_1)
	v_rcp_iflag_f32_e32 v1, v1
	v_mul_f32_e32 v1, 0x4f7ffffe, v1
	s_delay_alu instid0(VALU_DEP_1) | instskip(NEXT) | instid1(VALU_DEP_1)
	v_cvt_u32_f32_e32 v1, v1
	v_readfirstlane_b32 s3, v1
	s_wait_alu 0xfffe
	s_mul_i32 s7, s7, s3
	s_wait_alu 0xfffe
	s_mul_hi_u32 s7, s3, s7
	s_wait_alu 0xfffe
	s_add_co_i32 s3, s3, s7
	s_delay_alu instid0(SALU_CYCLE_1) | instskip(NEXT) | instid1(SALU_CYCLE_1)
	s_mul_hi_u32 s3, s2, s3
	s_mul_i32 s7, s3, s16
	s_wait_alu 0xfffe
	s_sub_co_i32 s2, s2, s7
	s_add_co_i32 s7, s3, 1
	s_sub_co_i32 s8, s2, s16
	s_cmp_ge_u32 s2, s16
	s_wait_alu 0xfffe
	s_cselect_b32 s3, s7, s3
	s_cselect_b32 s2, s8, s2
	s_add_co_i32 s7, s3, 1
	s_cmp_ge_u32 s2, s16
	s_wait_alu 0xfffe
	s_cselect_b32 s20, s7, s3
.LBB8_3:
	s_add_co_i32 s2, ttmp9, 1
	s_mov_b32 s8, 0
	s_ashr_i32 s3, s2, 31
	s_delay_alu instid0(SALU_CYCLE_1) | instskip(NEXT) | instid1(SALU_CYCLE_1)
	s_mul_u64 s[2:3], s[18:19], s[2:3]
	s_mov_b32 s9, s3
	s_delay_alu instid0(SALU_CYCLE_1)
	s_cmp_lg_u64 s[8:9], 0
	s_cbranch_scc0 .LBB8_22
; %bb.4:
	s_add_nc_u64 s[10:11], s[16:17], 0
	s_mov_b32 s23, s8
	s_xor_b64 s[10:11], s[10:11], 0
	s_mov_b32 s27, s8
	s_cvt_f32_u32 s7, s10
	s_cvt_f32_u32 s9, s11
	s_sub_nc_u64 s[14:15], 0, s[10:11]
	s_wait_alu 0xfffe
	s_delay_alu instid0(SALU_CYCLE_1) | instskip(SKIP_1) | instid1(SALU_CYCLE_2)
	s_fmamk_f32 s7, s9, 0x4f800000, s7
	s_wait_alu 0xfffe
	v_s_rcp_f32 s7, s7
	s_delay_alu instid0(TRANS32_DEP_1) | instskip(SKIP_1) | instid1(SALU_CYCLE_2)
	s_mul_f32 s7, s7, 0x5f7ffffc
	s_wait_alu 0xfffe
	s_mul_f32 s9, s7, 0x2f800000
	s_delay_alu instid0(SALU_CYCLE_3) | instskip(NEXT) | instid1(SALU_CYCLE_3)
	s_trunc_f32 s9, s9
	s_fmamk_f32 s7, s9, 0xcf800000, s7
	s_cvt_u32_f32 s13, s9
	s_wait_alu 0xfffe
	s_delay_alu instid0(SALU_CYCLE_1) | instskip(NEXT) | instid1(SALU_CYCLE_3)
	s_cvt_u32_f32 s12, s7
	s_mul_u64 s[24:25], s[14:15], s[12:13]
	s_delay_alu instid0(SALU_CYCLE_1)
	s_mul_hi_u32 s29, s12, s25
	s_mul_i32 s28, s12, s25
	s_mul_hi_u32 s22, s12, s24
	s_mul_i32 s9, s13, s24
	s_add_nc_u64 s[22:23], s[22:23], s[28:29]
	s_mul_hi_u32 s7, s13, s24
	s_mul_hi_u32 s21, s13, s25
	s_add_co_u32 s9, s22, s9
	s_wait_alu 0xfffe
	s_add_co_ci_u32 s26, s23, s7
	s_mul_i32 s24, s13, s25
	s_add_co_ci_u32 s25, s21, 0
	s_delay_alu instid0(SALU_CYCLE_1)
	s_add_nc_u64 s[22:23], s[26:27], s[24:25]
	s_mov_b32 s25, s8
	s_add_co_u32 s12, s12, s22
	s_cselect_b32 s7, -1, 0
	s_wait_alu 0xfffe
	s_cmp_lg_u32 s7, 0
	s_add_co_ci_u32 s13, s13, s23
	s_mov_b32 s23, s8
	s_mul_u64 s[14:15], s[14:15], s[12:13]
	s_delay_alu instid0(SALU_CYCLE_1)
	s_mul_hi_u32 s27, s12, s15
	s_mul_i32 s26, s12, s15
	s_mul_hi_u32 s22, s12, s14
	s_mul_i32 s9, s13, s14
	s_add_nc_u64 s[22:23], s[22:23], s[26:27]
	s_mul_hi_u32 s7, s13, s14
	s_mul_hi_u32 s21, s13, s15
	s_add_co_u32 s9, s22, s9
	s_wait_alu 0xfffe
	s_add_co_ci_u32 s24, s23, s7
	s_mul_i32 s14, s13, s15
	s_add_co_ci_u32 s15, s21, 0
	s_mov_b32 s23, s8
	s_add_nc_u64 s[14:15], s[24:25], s[14:15]
	s_delay_alu instid0(SALU_CYCLE_1) | instskip(SKIP_1) | instid1(SALU_CYCLE_1)
	s_add_co_u32 s7, s12, s14
	s_cselect_b32 s9, -1, 0
	s_cmp_lg_u32 s9, 0
	s_add_co_ci_u32 s9, s13, s15
	s_ashr_i32 s12, s3, 31
	s_delay_alu instid0(SALU_CYCLE_1) | instskip(NEXT) | instid1(SALU_CYCLE_1)
	s_mov_b32 s13, s12
	s_add_nc_u64 s[14:15], s[2:3], s[12:13]
	s_delay_alu instid0(SALU_CYCLE_1) | instskip(NEXT) | instid1(SALU_CYCLE_1)
	s_xor_b64 s[14:15], s[14:15], s[12:13]
	s_mul_hi_u32 s27, s14, s9
	s_mul_i32 s26, s14, s9
	s_wait_alu 0xfffe
	s_mul_hi_u32 s22, s14, s7
	s_mul_hi_u32 s21, s15, s7
	s_mul_i32 s7, s15, s7
	s_add_nc_u64 s[22:23], s[22:23], s[26:27]
	s_mul_hi_u32 s3, s15, s9
	s_wait_alu 0xfffe
	s_add_co_u32 s7, s22, s7
	s_add_co_ci_u32 s24, s23, s21
	s_mul_i32 s26, s15, s9
	s_add_co_ci_u32 s27, s3, 0
	s_delay_alu instid0(SALU_CYCLE_1) | instskip(NEXT) | instid1(SALU_CYCLE_1)
	s_add_nc_u64 s[22:23], s[24:25], s[26:27]
	s_mul_u64 s[24:25], s[10:11], s[22:23]
	s_add_nc_u64 s[26:27], s[22:23], 1
	s_sub_co_u32 s3, s14, s24
	s_cselect_b32 s7, -1, 0
	s_sub_co_i32 s9, s15, s25
	s_wait_alu 0xfffe
	s_cmp_lg_u32 s7, 0
	s_add_nc_u64 s[28:29], s[22:23], 2
	s_sub_co_ci_u32 s9, s9, s11
	s_sub_co_u32 s14, s3, s10
	s_cselect_b32 s21, -1, 0
	s_delay_alu instid0(SALU_CYCLE_1) | instskip(SKIP_1) | instid1(SALU_CYCLE_1)
	s_cmp_lg_u32 s21, 0
	s_sub_co_ci_u32 s9, s9, 0
	s_cmp_ge_u32 s9, s11
	s_cselect_b32 s21, -1, 0
	s_cmp_ge_u32 s14, s10
	s_cselect_b32 s14, -1, 0
	s_cmp_eq_u32 s9, s11
	s_cselect_b32 s9, s14, s21
	s_delay_alu instid0(SALU_CYCLE_1)
	s_cmp_lg_u32 s9, 0
	s_cselect_b32 s9, s28, s26
	s_cselect_b32 s14, s29, s27
	s_cmp_lg_u32 s7, 0
	s_sub_co_ci_u32 s7, s15, s25
	s_wait_alu 0xfffe
	s_cmp_ge_u32 s7, s11
	s_cselect_b32 s15, -1, 0
	s_cmp_ge_u32 s3, s10
	s_cselect_b32 s3, -1, 0
	s_cmp_eq_u32 s7, s11
	s_cselect_b32 s3, s3, s15
	s_delay_alu instid0(SALU_CYCLE_1) | instskip(SKIP_3) | instid1(SALU_CYCLE_1)
	s_cmp_lg_u32 s3, 0
	s_cselect_b32 s11, s14, s23
	s_cselect_b32 s10, s9, s22
	s_xor_b64 s[12:13], s[12:13], 0
	s_xor_b64 s[10:11], s[10:11], s[12:13]
	s_delay_alu instid0(SALU_CYCLE_1)
	s_sub_nc_u64 s[10:11], s[10:11], s[12:13]
	s_load_b96 s[12:14], s[0:1], 0x44
	s_and_not1_b32 vcc_lo, exec_lo, s8
	s_cbranch_vccnz .LBB8_6
.LBB8_5:
	v_cvt_f32_u32_e32 v1, s16
	s_sub_co_i32 s7, 0, s16
	s_delay_alu instid0(VALU_DEP_1) | instskip(NEXT) | instid1(TRANS32_DEP_1)
	v_rcp_iflag_f32_e32 v1, v1
	v_mul_f32_e32 v1, 0x4f7ffffe, v1
	s_delay_alu instid0(VALU_DEP_1) | instskip(NEXT) | instid1(VALU_DEP_1)
	v_cvt_u32_f32_e32 v1, v1
	v_readfirstlane_b32 s3, v1
	s_wait_alu 0xfffe
	s_mul_i32 s7, s7, s3
	s_wait_alu 0xfffe
	s_mul_hi_u32 s7, s3, s7
	s_wait_alu 0xfffe
	s_add_co_i32 s3, s3, s7
	s_delay_alu instid0(SALU_CYCLE_1) | instskip(NEXT) | instid1(SALU_CYCLE_1)
	s_mul_hi_u32 s3, s2, s3
	s_mul_i32 s7, s3, s16
	s_wait_alu 0xfffe
	s_sub_co_i32 s2, s2, s7
	s_add_co_i32 s7, s3, 1
	s_sub_co_i32 s8, s2, s16
	s_cmp_ge_u32 s2, s16
	s_wait_alu 0xfffe
	s_cselect_b32 s3, s7, s3
	s_cselect_b32 s2, s8, s2
	s_add_co_i32 s7, s3, 1
	s_cmp_ge_u32 s2, s16
	s_wait_alu 0xfffe
	s_cselect_b32 s10, s7, s3
.LBB8_6:
	s_mov_b32 s21, 0
	s_wait_kmcnt 0x0
	s_mov_b32 s22, s12
	s_mov_b32 s23, s21
	s_cmp_eq_u32 s20, s10
	s_mul_u64 s[2:3], s[20:21], s[22:23]
	s_cselect_b32 s7, -1, 0
	s_add_co_i32 s2, s3, s20
	s_mov_b32 s11, s21
	s_lshr_b32 s12, s2, s13
	s_mul_u64 s[2:3], s[10:11], s[22:23]
	s_mul_i32 s2, s12, s14
	s_delay_alu instid0(SALU_CYCLE_1) | instskip(SKIP_2) | instid1(SALU_CYCLE_1)
	s_cmp_eq_u32 s2, s20
	s_cselect_b32 s2, -1, 0
	s_add_co_i32 s3, s3, s10
	s_lshr_b32 s3, s3, s13
	s_delay_alu instid0(SALU_CYCLE_1)
	s_cmp_eq_u32 s12, s3
	s_mul_i32 s3, s3, s14
	s_cselect_b32 s8, -1, 0
	s_cmp_lg_u32 s3, s10
	s_cselect_b32 s3, -1, 0
	s_wait_alu 0xfffe
	s_or_b32 s2, s7, s2
	s_and_b32 s3, s8, s3
	s_delay_alu instid0(SALU_CYCLE_1) | instskip(NEXT) | instid1(SALU_CYCLE_1)
	s_or_b32 s2, s2, s3
	s_and_b32 vcc_lo, exec_lo, s2
	s_cbranch_vccnz .LBB8_24
; %bb.7:
	s_load_b256 s[24:31], s[0:1], 0x20
	s_mov_b32 s3, s21
	s_load_b32 s7, s[0:1], 0x40
	s_and_b32 s15, ttmp7, 0xffff
	s_wait_kmcnt 0x0
	s_mov_b32 s2, s24
	s_delay_alu instid0(SALU_CYCLE_1) | instskip(NEXT) | instid1(SALU_CYCLE_1)
	s_mul_u64 s[2:3], s[20:21], s[2:3]
	s_add_co_i32 s2, s3, s20
	s_delay_alu instid0(SALU_CYCLE_1) | instskip(NEXT) | instid1(SALU_CYCLE_1)
	s_lshr_b32 s2, s2, s25
	s_mul_i32 s3, s2, s26
	s_delay_alu instid0(SALU_CYCLE_1) | instskip(NEXT) | instid1(SALU_CYCLE_1)
	s_sub_co_i32 s8, s20, s3
	s_mul_hi_u32 s3, s8, s27
	s_delay_alu instid0(SALU_CYCLE_1) | instskip(NEXT) | instid1(SALU_CYCLE_1)
	s_add_co_i32 s3, s8, s3
	s_lshr_b32 s3, s3, s28
	s_delay_alu instid0(SALU_CYCLE_1) | instskip(NEXT) | instid1(SALU_CYCLE_1)
	s_mul_i32 s9, s3, s29
	s_sub_co_i32 s8, s8, s9
	s_delay_alu instid0(SALU_CYCLE_1) | instskip(NEXT) | instid1(SALU_CYCLE_1)
	s_mul_hi_u32 s9, s8, s30
	s_add_co_i32 s9, s8, s9
	s_delay_alu instid0(SALU_CYCLE_1)
	s_lshr_b32 s24, s9, s31
	s_mov_b32 s9, s21
	s_mul_i32 s7, s24, s7
	s_lshr_b32 s21, ttmp7, 16
	s_wait_alu 0xfffe
	s_sub_co_i32 s8, s8, s7
	s_lshl_b32 s24, s24, 4
	s_mul_u64 s[10:11], s[8:9], s[22:23]
	s_delay_alu instid0(SALU_CYCLE_1)
	s_add_co_i32 s7, s8, s11
	s_wait_alu 0xfffe
	s_lshr_b32 s7, s7, s13
	s_wait_alu 0xfffe
	s_add_co_i32 s7, s7, s15
	s_wait_alu 0xfffe
	s_cmp_lt_i32 s7, s4
	s_cselect_b32 s8, -1, 0
	s_add_co_i32 s24, s24, s21
	s_delay_alu instid0(SALU_CYCLE_1) | instskip(SKIP_1) | instid1(SALU_CYCLE_1)
	s_cmp_lt_i32 s24, s6
	s_cselect_b32 s9, -1, 0
	s_and_b32 s8, s8, s9
	s_delay_alu instid0(SALU_CYCLE_1)
	s_and_not1_b32 vcc_lo, exec_lo, s8
	s_cbranch_vccnz .LBB8_24
; %bb.8:
	s_mul_i32 s2, s2, s4
	s_load_b128 s[8:11], s[0:1], 0x0
	s_mul_i32 s3, s3, s6
	s_add_co_i32 s0, s7, s2
	s_add_co_i32 s1, s24, s3
	s_mul_i32 s0, s0, s5
	v_cvt_f32_u32_e32 v4, s16
	s_add_co_i32 s1, s1, s0
	s_add_co_i32 s34, ttmp9, -1
	v_lshl_or_b32 v1, s1, 7, v0
	s_add_nc_u64 s[0:1], s[16:17], 0
	v_rcp_iflag_f32_e32 v4, v4
	s_wait_alu 0xfffe
	s_xor_b64 s[6:7], s[0:1], 0
	s_add_co_i32 s0, s15, ttmp9
	v_ashrrev_i32_e32 v2, 31, v1
	s_wait_alu 0xfffe
	s_cvt_f32_u32 s1, s6
	s_cvt_f32_u32 s2, s7
	s_lshl_b32 s0, s0, 4
	v_lshl_or_b32 v0, s21, 7, v0
	v_lshlrev_b64_e32 v[1:2], 2, v[1:2]
	s_wait_alu 0xfffe
	s_add_co_i32 s0, s0, s21
	s_fmamk_f32 s2, s2, 0x4f800000, s1
	s_wait_alu 0xfffe
	s_ashr_i32 s1, s0, 31
	s_sub_nc_u64 s[30:31], 0, s[6:7]
	s_wait_alu 0xfffe
	s_lshl_b64 s[0:1], s[0:1], 3
	s_wait_kmcnt 0x0
	v_add_co_u32 v1, vcc_lo, s8, v1
	s_delay_alu instid0(VALU_DEP_1)
	v_add_co_ci_u32_e64 v2, null, s9, v2, vcc_lo
	v_s_rcp_f32 s2, s2
	s_wait_alu 0xfffe
	s_add_nc_u64 s[0:1], s[10:11], s[0:1]
	s_mov_b32 s8, 0
	global_load_b32 v3, v[1:2], off
	s_load_b64 s[26:27], s[0:1], 0x0
	v_mul_f32_e32 v4, 0x4f7ffffe, v4
	s_lshl_b32 s0, s16, 6
	s_mul_f32 s2, s2, 0x5f7ffffc
	s_wait_alu 0xfffe
	s_delay_alu instid0(SALU_CYCLE_2) | instskip(SKIP_1) | instid1(SALU_CYCLE_2)
	s_mul_f32 s1, s2, 0x2f800000
	s_wait_alu 0xfffe
	s_trunc_f32 s3, s1
	s_mov_b32 s1, s8
	s_wait_alu 0xfffe
	s_lshl_b64 s[0:1], s[0:1], 2
	s_fmamk_f32 s2, s3, 0xcf800000, s2
	s_cvt_u32_f32 s29, s3
	s_wait_alu 0xfffe
	s_add_nc_u64 s[24:25], s[10:11], s[0:1]
	s_cvt_u32_f32 s28, s2
	s_wait_kmcnt 0x0
	v_mov_b32_e32 v5, s27
	v_cvt_u32_f32_e32 v4, v4
.LBB8_9:                                ; =>This Inner Loop Header: Depth=1
	s_wait_alu 0xfffe
	s_ashr_i32 s35, s34, 31
	s_mov_b32 s2, -1
	s_wait_alu 0xfffe
	s_mul_u64 s[0:1], s[34:35], s[18:19]
                                        ; implicit-def: $sgpr38_sgpr39
	s_wait_alu 0xfffe
	s_mov_b32 s9, s1
	s_wait_alu 0xfffe
	s_cmp_lg_u64 s[8:9], 0
	s_cbranch_scc0 .LBB8_11
; %bb.10:                               ;   in Loop: Header=BB8_9 Depth=1
	s_mul_u64 s[2:3], s[30:31], s[28:29]
	s_mov_b32 s37, s8
	s_wait_alu 0xfffe
	s_mul_hi_u32 s5, s28, s3
	s_mul_i32 s4, s28, s3
	s_mul_hi_u32 s36, s28, s2
	s_mul_hi_u32 s9, s29, s2
	s_wait_alu 0xfffe
	s_add_nc_u64 s[4:5], s[36:37], s[4:5]
	s_mul_i32 s2, s29, s2
	s_mul_hi_u32 s17, s29, s3
	s_wait_alu 0xfffe
	s_add_co_u32 s2, s4, s2
	s_add_co_ci_u32 s2, s5, s9
	s_add_co_ci_u32 s5, s17, 0
	s_mul_i32 s4, s29, s3
	s_mov_b32 s3, s8
	s_mov_b32 s39, s8
	s_wait_alu 0xfffe
	s_add_nc_u64 s[2:3], s[2:3], s[4:5]
	s_wait_alu 0xfffe
	s_add_co_u32 s2, s28, s2
	s_cselect_b32 s4, -1, 0
	s_wait_alu 0xfffe
	s_cmp_lg_u32 s4, 0
	s_add_co_ci_u32 s3, s29, s3
	s_wait_alu 0xfffe
	s_mul_u64 s[4:5], s[30:31], s[2:3]
	s_wait_alu 0xfffe
	s_mul_hi_u32 s37, s2, s5
	s_mul_i32 s36, s2, s5
	s_mul_hi_u32 s38, s2, s4
	s_mul_hi_u32 s9, s3, s4
	s_mul_i32 s4, s3, s4
	s_wait_alu 0xfffe
	s_add_nc_u64 s[36:37], s[38:39], s[36:37]
	s_mul_hi_u32 s17, s3, s5
	s_wait_alu 0xfffe
	s_add_co_u32 s4, s36, s4
	s_add_co_ci_u32 s4, s37, s9
	s_add_co_ci_u32 s37, s17, 0
	s_mul_i32 s36, s3, s5
	s_mov_b32 s5, s8
	s_wait_alu 0xfffe
	s_add_nc_u64 s[4:5], s[4:5], s[36:37]
	s_mov_b32 s37, s8
	s_wait_alu 0xfffe
	s_add_co_u32 s9, s2, s4
	s_cselect_b32 s2, -1, 0
	s_wait_alu 0xfffe
	s_cmp_lg_u32 s2, 0
	s_add_co_ci_u32 s17, s3, s5
	s_ashr_i32 s2, s1, 31
	s_wait_alu 0xfffe
	s_mov_b32 s3, s2
	s_wait_alu 0xfffe
	s_add_nc_u64 s[4:5], s[0:1], s[2:3]
	s_wait_alu 0xfffe
	s_xor_b64 s[4:5], s[4:5], s[2:3]
	s_wait_alu 0xfffe
	s_mul_hi_u32 s39, s4, s17
	s_mul_i32 s38, s4, s17
	s_mul_hi_u32 s36, s4, s9
	s_mul_i32 s27, s5, s9
	s_wait_alu 0xfffe
	s_add_nc_u64 s[36:37], s[36:37], s[38:39]
	s_mul_hi_u32 s9, s5, s9
	s_mul_hi_u32 s1, s5, s17
	s_wait_alu 0xfffe
	s_add_co_u32 s27, s36, s27
	s_add_co_ci_u32 s36, s37, s9
	s_add_co_ci_u32 s39, s1, 0
	s_mul_i32 s38, s5, s17
	s_mov_b32 s37, s8
	s_wait_alu 0xfffe
	s_add_nc_u64 s[36:37], s[36:37], s[38:39]
	s_wait_alu 0xfffe
	s_mul_u64 s[38:39], s[6:7], s[36:37]
	s_add_nc_u64 s[40:41], s[36:37], 1
	s_wait_alu 0xfffe
	s_sub_co_u32 s1, s4, s38
	s_cselect_b32 s4, -1, 0
	s_sub_co_i32 s9, s5, s39
	s_wait_alu 0xfffe
	s_cmp_lg_u32 s4, 0
	s_add_nc_u64 s[42:43], s[36:37], 2
	s_sub_co_ci_u32 s9, s9, s7
	s_sub_co_u32 s17, s1, s6
	s_cselect_b32 s27, -1, 0
	s_wait_alu 0xfffe
	s_cmp_lg_u32 s27, 0
	s_sub_co_ci_u32 s9, s9, 0
	s_wait_alu 0xfffe
	s_cmp_ge_u32 s9, s7
	s_cselect_b32 s27, -1, 0
	s_cmp_ge_u32 s17, s6
	s_cselect_b32 s17, -1, 0
	s_cmp_eq_u32 s9, s7
	s_wait_alu 0xfffe
	s_cselect_b32 s9, s17, s27
	s_wait_alu 0xfffe
	s_cmp_lg_u32 s9, 0
	s_cselect_b32 s9, s42, s40
	s_cselect_b32 s17, s43, s41
	s_cmp_lg_u32 s4, 0
	s_sub_co_ci_u32 s4, s5, s39
	s_wait_alu 0xfffe
	s_cmp_ge_u32 s4, s7
	s_cselect_b32 s5, -1, 0
	s_cmp_ge_u32 s1, s6
	s_cselect_b32 s1, -1, 0
	s_cmp_eq_u32 s4, s7
	s_wait_alu 0xfffe
	s_cselect_b32 s1, s1, s5
	s_wait_alu 0xfffe
	s_cmp_lg_u32 s1, 0
	s_cselect_b32 s5, s17, s37
	s_cselect_b32 s4, s9, s36
	s_xor_b64 s[2:3], s[2:3], 0
	s_wait_alu 0xfffe
	s_xor_b64 s[4:5], s[4:5], s[2:3]
	s_wait_alu 0xfffe
	s_sub_nc_u64 s[38:39], s[4:5], s[2:3]
	s_mov_b32 s2, 0
.LBB8_11:                               ;   in Loop: Header=BB8_9 Depth=1
	s_wait_alu 0xfffe
	s_and_not1_b32 vcc_lo, exec_lo, s2
	s_wait_alu 0xfffe
	s_cbranch_vccnz .LBB8_13
; %bb.12:                               ;   in Loop: Header=BB8_9 Depth=1
	v_readfirstlane_b32 s1, v4
	s_sub_co_i32 s2, 0, s16
	s_wait_alu 0xfffe
	s_mul_i32 s2, s2, s1
	s_wait_alu 0xfffe
	s_mul_hi_u32 s2, s1, s2
	s_wait_alu 0xfffe
	s_add_co_i32 s1, s1, s2
	s_wait_alu 0xfffe
	s_mul_hi_u32 s1, s0, s1
	s_wait_alu 0xfffe
	s_mul_i32 s2, s1, s16
	s_wait_alu 0xfffe
	s_sub_co_i32 s0, s0, s2
	s_add_co_i32 s2, s1, 1
	s_wait_alu 0xfffe
	s_sub_co_i32 s3, s0, s16
	s_cmp_ge_u32 s0, s16
	s_cselect_b32 s1, s2, s1
	s_wait_alu 0xfffe
	s_cselect_b32 s0, s3, s0
	s_add_co_i32 s2, s1, 1
	s_wait_alu 0xfffe
	s_cmp_ge_u32 s0, s16
	s_cselect_b32 s38, s2, s1
.LBB8_13:                               ;   in Loop: Header=BB8_9 Depth=1
	v_readfirstlane_b32 s9, v0
	s_wait_alu 0xfffe
	s_cmp_lg_u32 s20, s38
	s_mov_b32 s0, -1
                                        ; implicit-def: $sgpr27
                                        ; implicit-def: $vgpr6
                                        ; implicit-def: $vgpr7
                                        ; implicit-def: $sgpr17
                                        ; implicit-def: $sgpr33
	s_cbranch_scc1 .LBB8_16
; %bb.14:                               ;   in Loop: Header=BB8_9 Depth=1
	s_wait_alu 0xfffe
	s_and_not1_b32 vcc_lo, exec_lo, s0
	s_wait_alu 0xfffe
	s_cbranch_vccz .LBB8_19
.LBB8_15:                               ;   in Loop: Header=BB8_9 Depth=1
	s_and_not1_b32 vcc_lo, exec_lo, s27
	s_wait_alu 0xfffe
	s_cbranch_vccnz .LBB8_20
	s_branch .LBB8_23
.LBB8_16:                               ;   in Loop: Header=BB8_9 Depth=1
	s_add_co_i32 s40, s34, s15
	s_mov_b32 s1, s8
	s_wait_alu 0xfffe
	s_add_co_i32 s0, s40, s16
	v_max_num_f32_e64 v6, s26, s26
	s_wait_alu 0xfffe
	s_lshl_b32 s0, s0, 4
	s_mov_b32 s39, s8
	s_wait_alu 0xfffe
	s_add_co_i32 s0, s0, s21
	s_mul_u64 s[42:43], s[38:39], s[22:23]
	s_wait_alu 0xfffe
	s_lshl_b64 s[0:1], s[0:1], 3
	s_mov_b32 s33, s20
	s_wait_alu 0xfffe
	s_add_nc_u64 s[0:1], s[10:11], s[0:1]
	s_load_b64 s[36:37], s[0:1], 0x0
	v_readfirstlane_b32 s0, v6
	s_wait_kmcnt 0x0
	v_max_num_f32_e64 v7, s36, s36
	s_delay_alu instid0(VALU_DEP_1) | instskip(SKIP_2) | instid1(SALU_CYCLE_2)
	v_readfirstlane_b32 s1, v7
	s_max_num_f32 s9, s0, s1
	s_wait_alu 0xfffe
	s_sub_f32 s35, s26, s9
	s_sub_f32 s36, s36, s9
	s_wait_alu 0xfffe
	s_delay_alu instid0(SALU_CYCLE_1)
	s_cmp_nlt_f32 s35, 0xc2ce8ed0
	s_cselect_b32 s0, -1, 0
	s_cmp_ngt_f32 s35, 0x42b17218
	s_cselect_b32 s1, -1, 0
	s_cmp_ge_f32 s35, 0xc1a00000
	s_cselect_b32 s2, -1, 0
	s_cmp_nlt_f32 s36, 0xc2ce8ed0
	s_cselect_b32 s3, -1, 0
	s_cmp_ngt_f32 s36, 0x42b17218
	s_cselect_b32 s4, -1, 0
	s_cmp_ge_f32 s36, 0xc1a00000
	s_cselect_b32 s5, -1, 0
	s_add_co_i32 s17, s43, s38
	s_wait_alu 0xfffe
	s_lshr_b32 s17, s17, s13
	s_wait_alu 0xfffe
	s_mul_i32 s27, s17, s14
	s_wait_alu 0xfffe
	s_cmp_eq_u32 s27, s38
	s_cselect_b32 s27, -1, 0
	s_cmp_lt_u32 s17, s12
	s_cselect_b32 s17, -1, 0
	s_wait_alu 0xfffe
	s_or_b32 s17, s17, s27
	s_mov_b32 s27, -1
	s_wait_alu 0xfffe
	s_and_b32 vcc_lo, exec_lo, s17
	s_mov_b32 s17, s34
	s_wait_alu 0xfffe
	s_cbranch_vccnz .LBB8_18
; %bb.17:                               ;   in Loop: Header=BB8_9 Depth=1
	s_add_co_i32 s17, s34, -1
	s_mov_b32 s27, 0
	s_mov_b32 s33, s38
.LBB8_18:                               ;   in Loop: Header=BB8_9 Depth=1
	v_lshl_add_u32 v6, s40, 11, v0
	s_mul_f32 s38, s36, 0x3fb8aa3b
	s_mul_f32 s39, s35, 0x3fb8aa3b
	s_wait_alu 0xfffe
	s_delay_alu instid0(SALU_CYCLE_1)
	s_xor_b32 s40, s38, 0x80000000
	v_ashrrev_i32_e32 v7, 31, v6
	s_rndne_f32 s41, s38
	s_wait_alu 0xfffe
	s_fmamk_f32 s40, s36, 0x3fb8aa3b, s40
	s_xor_b32 s42, s39, 0x80000000
	s_rndne_f32 s43, s39
	v_lshlrev_b64_e32 v[6:7], 2, v[6:7]
	s_sub_f32 s38, s38, s41
	s_wait_alu 0xfffe
	s_fmamk_f32 s36, s36, 0x32a5705f, s40
	s_fmamk_f32 s40, s35, 0x3fb8aa3b, s42
	s_sub_f32 s39, s39, s43
	v_add_co_u32 v6, vcc_lo, s24, v6
	s_wait_alu 0xfffd
	v_add_co_ci_u32_e64 v7, null, s25, v7, vcc_lo
	s_wait_alu 0xfffe
	s_add_f32 s36, s38, s36
	s_fmamk_f32 s35, s35, 0x32a5705f, s40
	s_cvt_i32_f32 s38, s41
	global_load_b32 v6, v[6:7], off
	s_wait_alu 0xfffe
	v_s_exp_f32 s36, s36
	s_add_f32 s35, s39, s35
	s_wait_alu 0xfffe
	s_delay_alu instid0(SALU_CYCLE_2) | instskip(NEXT) | instid1(TRANS32_DEP_2)
	v_s_exp_f32 s35, s35
	v_ldexp_f32 v7, s36, s38
	s_cvt_i32_f32 s36, s43
	s_wait_alu 0xf1fe
	s_delay_alu instid0(TRANS32_DEP_1) | instid1(SALU_CYCLE_2)
	v_ldexp_f32 v8, s35, s36
	s_delay_alu instid0(VALU_DEP_2) | instskip(NEXT) | instid1(VALU_DEP_2)
	v_cndmask_b32_e64 v7, 0, v7, s3
	v_cndmask_b32_e64 v8, 0, v8, s0
	s_delay_alu instid0(VALU_DEP_2) | instskip(NEXT) | instid1(VALU_DEP_2)
	v_cndmask_b32_e64 v7, 0x7f800000, v7, s4
	v_cndmask_b32_e64 v8, 0x7f800000, v8, s1
	;; [unrolled: 3-line block ×3, first 2 shown]
	s_wait_loadcnt 0x0
	s_delay_alu instid0(VALU_DEP_2) | instskip(SKIP_1) | instid1(VALU_DEP_1)
	v_mul_f32_e32 v6, v6, v7
	v_mul_f32_e32 v7, s37, v7
	v_fmac_f32_e32 v7, v5, v8
	s_delay_alu instid0(VALU_DEP_3)
	v_fmac_f32_e32 v6, v3, v8
	s_cbranch_execnz .LBB8_15
.LBB8_19:                               ;   in Loop: Header=BB8_9 Depth=1
	s_wait_loadcnt 0x0
	v_dual_mov_b32 v7, v5 :: v_dual_mov_b32 v6, v3
	s_add_co_i32 s17, s34, -1
	s_mov_b32 s33, s20
	s_mov_b32 s9, s26
	s_cbranch_execz .LBB8_23
.LBB8_20:                               ;   in Loop: Header=BB8_9 Depth=1
	v_mov_b32_e32 v5, v7
	s_wait_loadcnt 0x0
	v_mov_b32_e32 v3, v6
	s_mov_b32 s20, s33
	s_wait_alu 0xfffe
	s_mov_b32 s34, s17
	s_mov_b32 s26, s9
	s_branch .LBB8_9
.LBB8_21:
                                        ; implicit-def: $sgpr20_sgpr21
	s_branch .LBB8_2
.LBB8_22:
                                        ; implicit-def: $sgpr10_sgpr11
	s_load_b96 s[12:14], s[0:1], 0x44
	s_branch .LBB8_5
.LBB8_23:
	v_div_scale_f32 v0, null, v7, v7, v6
	s_wait_loadcnt 0x0
	s_delay_alu instid0(VALU_DEP_1) | instskip(NEXT) | instid1(TRANS32_DEP_1)
	v_rcp_f32_e32 v3, v0
	v_fma_f32 v4, -v0, v3, 1.0
	s_delay_alu instid0(VALU_DEP_1) | instskip(SKIP_1) | instid1(VALU_DEP_1)
	v_fmac_f32_e32 v3, v4, v3
	v_div_scale_f32 v4, vcc_lo, v6, v7, v6
	v_mul_f32_e32 v5, v4, v3
	s_delay_alu instid0(VALU_DEP_1) | instskip(NEXT) | instid1(VALU_DEP_1)
	v_fma_f32 v8, -v0, v5, v4
	v_fmac_f32_e32 v5, v8, v3
	s_delay_alu instid0(VALU_DEP_1) | instskip(SKIP_1) | instid1(VALU_DEP_1)
	v_fma_f32 v0, -v0, v5, v4
	s_wait_alu 0xfffd
	v_div_fmas_f32 v0, v0, v3, v5
	s_delay_alu instid0(VALU_DEP_1)
	v_div_fixup_f32 v0, v0, v7, v6
	global_store_b32 v[1:2], v0, off
.LBB8_24:
	s_endpgm
	.section	.rodata,"a",@progbits
	.p2align	6, 0x0
	.amdhsa_kernel _ZL33flash_attn_stream_k_fixup_generalILi128ELi1ELi16EEvPfPK15HIP_vector_typeIfLj2EEiiiiS1_IjLj3EES5_S5_S5_
		.amdhsa_group_segment_fixed_size 0
		.amdhsa_private_segment_fixed_size 0
		.amdhsa_kernarg_size 336
		.amdhsa_user_sgpr_count 2
		.amdhsa_user_sgpr_dispatch_ptr 0
		.amdhsa_user_sgpr_queue_ptr 0
		.amdhsa_user_sgpr_kernarg_segment_ptr 1
		.amdhsa_user_sgpr_dispatch_id 0
		.amdhsa_user_sgpr_private_segment_size 0
		.amdhsa_wavefront_size32 1
		.amdhsa_uses_dynamic_stack 0
		.amdhsa_enable_private_segment 0
		.amdhsa_system_sgpr_workgroup_id_x 1
		.amdhsa_system_sgpr_workgroup_id_y 1
		.amdhsa_system_sgpr_workgroup_id_z 1
		.amdhsa_system_sgpr_workgroup_info 0
		.amdhsa_system_vgpr_workitem_id 0
		.amdhsa_next_free_vgpr 9
		.amdhsa_next_free_sgpr 44
		.amdhsa_reserve_vcc 1
		.amdhsa_float_round_mode_32 0
		.amdhsa_float_round_mode_16_64 0
		.amdhsa_float_denorm_mode_32 3
		.amdhsa_float_denorm_mode_16_64 3
		.amdhsa_fp16_overflow 0
		.amdhsa_workgroup_processor_mode 1
		.amdhsa_memory_ordered 1
		.amdhsa_forward_progress 1
		.amdhsa_inst_pref_size 28
		.amdhsa_round_robin_scheduling 0
		.amdhsa_exception_fp_ieee_invalid_op 0
		.amdhsa_exception_fp_denorm_src 0
		.amdhsa_exception_fp_ieee_div_zero 0
		.amdhsa_exception_fp_ieee_overflow 0
		.amdhsa_exception_fp_ieee_underflow 0
		.amdhsa_exception_fp_ieee_inexact 0
		.amdhsa_exception_int_div_zero 0
	.end_amdhsa_kernel
	.section	.text._ZL33flash_attn_stream_k_fixup_generalILi128ELi1ELi16EEvPfPK15HIP_vector_typeIfLj2EEiiiiS1_IjLj3EES5_S5_S5_,"axG",@progbits,_ZL33flash_attn_stream_k_fixup_generalILi128ELi1ELi16EEvPfPK15HIP_vector_typeIfLj2EEiiiiS1_IjLj3EES5_S5_S5_,comdat
.Lfunc_end8:
	.size	_ZL33flash_attn_stream_k_fixup_generalILi128ELi1ELi16EEvPfPK15HIP_vector_typeIfLj2EEiiiiS1_IjLj3EES5_S5_S5_, .Lfunc_end8-_ZL33flash_attn_stream_k_fixup_generalILi128ELi1ELi16EEvPfPK15HIP_vector_typeIfLj2EEiiiiS1_IjLj3EES5_S5_S5_
                                        ; -- End function
	.set _ZL33flash_attn_stream_k_fixup_generalILi128ELi1ELi16EEvPfPK15HIP_vector_typeIfLj2EEiiiiS1_IjLj3EES5_S5_S5_.num_vgpr, 9
	.set _ZL33flash_attn_stream_k_fixup_generalILi128ELi1ELi16EEvPfPK15HIP_vector_typeIfLj2EEiiiiS1_IjLj3EES5_S5_S5_.num_agpr, 0
	.set _ZL33flash_attn_stream_k_fixup_generalILi128ELi1ELi16EEvPfPK15HIP_vector_typeIfLj2EEiiiiS1_IjLj3EES5_S5_S5_.numbered_sgpr, 44
	.set _ZL33flash_attn_stream_k_fixup_generalILi128ELi1ELi16EEvPfPK15HIP_vector_typeIfLj2EEiiiiS1_IjLj3EES5_S5_S5_.num_named_barrier, 0
	.set _ZL33flash_attn_stream_k_fixup_generalILi128ELi1ELi16EEvPfPK15HIP_vector_typeIfLj2EEiiiiS1_IjLj3EES5_S5_S5_.private_seg_size, 0
	.set _ZL33flash_attn_stream_k_fixup_generalILi128ELi1ELi16EEvPfPK15HIP_vector_typeIfLj2EEiiiiS1_IjLj3EES5_S5_S5_.uses_vcc, 1
	.set _ZL33flash_attn_stream_k_fixup_generalILi128ELi1ELi16EEvPfPK15HIP_vector_typeIfLj2EEiiiiS1_IjLj3EES5_S5_S5_.uses_flat_scratch, 0
	.set _ZL33flash_attn_stream_k_fixup_generalILi128ELi1ELi16EEvPfPK15HIP_vector_typeIfLj2EEiiiiS1_IjLj3EES5_S5_S5_.has_dyn_sized_stack, 0
	.set _ZL33flash_attn_stream_k_fixup_generalILi128ELi1ELi16EEvPfPK15HIP_vector_typeIfLj2EEiiiiS1_IjLj3EES5_S5_S5_.has_recursion, 0
	.set _ZL33flash_attn_stream_k_fixup_generalILi128ELi1ELi16EEvPfPK15HIP_vector_typeIfLj2EEiiiiS1_IjLj3EES5_S5_S5_.has_indirect_call, 0
	.section	.AMDGPU.csdata,"",@progbits
; Kernel info:
; codeLenInByte = 3556
; TotalNumSgprs: 46
; NumVgprs: 9
; ScratchSize: 0
; MemoryBound: 0
; FloatMode: 240
; IeeeMode: 1
; LDSByteSize: 0 bytes/workgroup (compile time only)
; SGPRBlocks: 0
; VGPRBlocks: 1
; NumSGPRsForWavesPerEU: 46
; NumVGPRsForWavesPerEU: 9
; Occupancy: 16
; WaveLimiterHint : 0
; COMPUTE_PGM_RSRC2:SCRATCH_EN: 0
; COMPUTE_PGM_RSRC2:USER_SGPR: 2
; COMPUTE_PGM_RSRC2:TRAP_HANDLER: 0
; COMPUTE_PGM_RSRC2:TGID_X_EN: 1
; COMPUTE_PGM_RSRC2:TGID_Y_EN: 1
; COMPUTE_PGM_RSRC2:TGID_Z_EN: 1
; COMPUTE_PGM_RSRC2:TIDIG_COMP_CNT: 0
	.section	.text._ZL15flash_attn_tileILi192ELi128ELi4ELi8ELb0EEvPKcS1_S1_S1_S1_PKiPfP15HIP_vector_typeIfLj2EEffffjfiS5_IjLj3EEiiiiiiiiiiiliiliiiiil,"axG",@progbits,_ZL15flash_attn_tileILi192ELi128ELi4ELi8ELb0EEvPKcS1_S1_S1_S1_PKiPfP15HIP_vector_typeIfLj2EEffffjfiS5_IjLj3EEiiiiiiiiiiiliiliiiiil,comdat
	.globl	_ZL15flash_attn_tileILi192ELi128ELi4ELi8ELb0EEvPKcS1_S1_S1_S1_PKiPfP15HIP_vector_typeIfLj2EEffffjfiS5_IjLj3EEiiiiiiiiiiiliiliiiiil ; -- Begin function _ZL15flash_attn_tileILi192ELi128ELi4ELi8ELb0EEvPKcS1_S1_S1_S1_PKiPfP15HIP_vector_typeIfLj2EEffffjfiS5_IjLj3EEiiiiiiiiiiiliiliiiiil
	.p2align	8
	.type	_ZL15flash_attn_tileILi192ELi128ELi4ELi8ELb0EEvPKcS1_S1_S1_S1_PKiPfP15HIP_vector_typeIfLj2EEffffjfiS5_IjLj3EEiiiiiiiiiiiliiliiiiil,@function
_ZL15flash_attn_tileILi192ELi128ELi4ELi8ELb0EEvPKcS1_S1_S1_S1_PKiPfP15HIP_vector_typeIfLj2EEffffjfiS5_IjLj3EEiiiiiiiiiiiliiliiiiil: ; @_ZL15flash_attn_tileILi192ELi128ELi4ELi8ELb0EEvPKcS1_S1_S1_S1_PKiPfP15HIP_vector_typeIfLj2EEffffjfiS5_IjLj3EEiiiiiiiiiiiliiliiiiil
; %bb.0:
	s_clause 0x1
	s_load_b128 s[24:27], s[0:1], 0x5c
	s_load_b64 s[34:35], s[0:1], 0x80
	s_lshr_b32 s5, ttmp7, 16
	s_clause 0x1
	s_load_b512 s[36:51], s[0:1], 0x0
	s_load_b64 s[8:9], s[0:1], 0xb8
	s_mov_b64 s[52:53], 0
	s_wait_kmcnt 0x0
	s_ashr_i32 s2, s27, 31
	s_delay_alu instid0(SALU_CYCLE_1) | instskip(NEXT) | instid1(SALU_CYCLE_1)
	s_lshr_b32 s2, s2, 29
	s_add_co_i32 s2, s27, s2
	s_delay_alu instid0(SALU_CYCLE_1) | instskip(NEXT) | instid1(SALU_CYCLE_1)
	s_ashr_i32 s2, s2, 3
	s_cvt_f32_u32 s3, s2
	s_sub_co_i32 s4, 0, s2
	s_delay_alu instid0(SALU_CYCLE_2) | instskip(NEXT) | instid1(TRANS32_DEP_1)
	v_rcp_iflag_f32_e32 v1, s3
	v_readfirstlane_b32 s3, v1
	s_mul_f32 s3, s3, 0x4f7ffffe
	s_wait_alu 0xfffe
	s_delay_alu instid0(SALU_CYCLE_2) | instskip(SKIP_1) | instid1(SALU_CYCLE_2)
	s_cvt_u32_f32 s3, s3
	s_wait_alu 0xfffe
	s_mul_i32 s4, s4, s3
	s_delay_alu instid0(SALU_CYCLE_1) | instskip(NEXT) | instid1(SALU_CYCLE_1)
	s_mul_hi_u32 s4, s3, s4
	s_add_co_i32 s3, s3, s4
	s_wait_alu 0xfffe
	s_mul_hi_u32 s3, s5, s3
	s_wait_alu 0xfffe
	s_mul_i32 s4, s3, s2
	s_add_co_i32 s6, s3, 1
	s_sub_co_i32 s4, s5, s4
	s_delay_alu instid0(SALU_CYCLE_1)
	s_sub_co_i32 s7, s4, s2
	s_cmp_ge_u32 s4, s2
	s_cselect_b32 s3, s6, s3
	s_cselect_b32 s4, s7, s4
	s_wait_alu 0xfffe
	s_add_co_i32 s6, s3, 1
	s_cmp_ge_u32 s4, s2
	s_cselect_b32 s28, s6, s3
	s_abs_i32 s2, s35
	s_abs_i32 s7, s27
	s_wait_alu 0xfffe
	s_cvt_f32_u32 s3, s2
	s_sub_co_i32 s4, 0, s2
	s_lshl_b32 s5, s5, 3
	s_mul_i32 s6, s28, s27
	s_wait_alu 0xfffe
	v_rcp_iflag_f32_e32 v1, s3
	s_sub_co_i32 s31, s5, s6
	s_delay_alu instid0(TRANS32_DEP_1) | instskip(SKIP_2) | instid1(SALU_CYCLE_2)
	v_readfirstlane_b32 s3, v1
	s_mul_f32 s3, s3, 0x4f7ffffe
	s_wait_alu 0xfffe
	s_cvt_u32_f32 s3, s3
	s_wait_alu 0xfffe
	s_delay_alu instid0(SALU_CYCLE_2) | instskip(NEXT) | instid1(SALU_CYCLE_1)
	s_mul_i32 s4, s4, s3
	s_mul_hi_u32 s4, s3, s4
	s_delay_alu instid0(SALU_CYCLE_1)
	s_add_co_i32 s3, s3, s4
	s_xor_b32 s4, s27, s35
	s_wait_alu 0xfffe
	s_mul_hi_u32 s3, s7, s3
	s_ashr_i32 s4, s4, 31
	s_wait_alu 0xfffe
	s_mul_i32 s5, s3, s2
	s_add_co_i32 s6, s3, 1
	s_sub_co_i32 s5, s7, s5
	s_delay_alu instid0(SALU_CYCLE_1)
	s_sub_co_i32 s7, s5, s2
	s_cmp_ge_u32 s5, s2
	s_cselect_b32 s3, s6, s3
	s_cselect_b32 s5, s7, s5
	s_wait_alu 0xfffe
	s_add_co_i32 s6, s3, 1
	s_cmp_ge_u32 s5, s2
	s_cselect_b32 s2, s6, s3
	s_mov_b32 s3, 0
	s_wait_alu 0xfffe
	s_xor_b32 s2, s2, s4
	s_wait_alu 0xfffe
	s_sub_co_i32 s11, s2, s4
	s_delay_alu instid0(SALU_CYCLE_1) | instskip(SKIP_3) | instid1(SALU_CYCLE_2)
	s_abs_i32 s10, s11
	s_cmp_eq_u64 s[42:43], 0
	s_cvt_f32_u32 s2, s10
	s_wait_alu 0xfffe
	v_rcp_iflag_f32_e32 v1, s2
	s_delay_alu instid0(TRANS32_DEP_1)
	v_readfirstlane_b32 s6, v1
	s_cbranch_scc1 .LBB9_2
; %bb.1:
	s_abs_i32 s2, s8
	s_wait_alu 0xfffe
	s_cvt_f32_u32 s4, s2
	s_delay_alu instid0(SALU_CYCLE_3) | instskip(NEXT) | instid1(TRANS32_DEP_1)
	v_rcp_iflag_f32_e32 v1, s4
	v_readfirstlane_b32 s4, v1
	s_mul_f32 s4, s4, 0x4f7ffffe
	s_wait_alu 0xfffe
	s_delay_alu instid0(SALU_CYCLE_2) | instskip(SKIP_2) | instid1(SALU_CYCLE_1)
	s_cvt_u32_f32 s7, s4
	s_sub_co_i32 s4, 0, s2
	s_wait_alu 0xfffe
	s_mul_i32 s4, s4, s7
	s_wait_alu 0xfffe
	s_mul_hi_u32 s8, s7, s4
	s_load_b64 s[4:5], s[0:1], 0xc8
	s_add_co_i32 s7, s7, s8
	s_delay_alu instid0(SALU_CYCLE_1) | instskip(NEXT) | instid1(SALU_CYCLE_1)
	s_mul_hi_u32 s7, s28, s7
	s_mul_i32 s7, s7, s2
	s_delay_alu instid0(SALU_CYCLE_1) | instskip(NEXT) | instid1(SALU_CYCLE_1)
	s_sub_co_i32 s7, s28, s7
	s_sub_co_i32 s8, s7, s2
	s_cmp_ge_u32 s7, s2
	s_cselect_b32 s7, s8, s7
	s_delay_alu instid0(SALU_CYCLE_1) | instskip(SKIP_2) | instid1(SALU_CYCLE_1)
	s_sub_co_i32 s8, s7, s2
	s_cmp_ge_u32 s7, s2
	s_cselect_b32 s12, s8, s7
	s_ashr_i32 s13, s12, 31
	s_wait_kmcnt 0x0
	s_mul_u64 s[4:5], s[4:5], s[12:13]
	s_wait_alu 0xfffe
	s_add_nc_u64 s[52:53], s[42:43], s[4:5]
.LBB9_2:
	v_lshrrev_b32_e32 v1, 10, v0
	s_clause 0x1
	s_load_b96 s[12:14], s[0:1], 0x70
	s_load_b32 s7, s[0:1], 0x40
	v_bfe_u32 v2, v0, 10, 10
	v_and_b32_e32 v13, 0x3ff, v0
	v_bfe_u32 v1, v1, 1, 9
	s_delay_alu instid0(VALU_DEP_3) | instskip(NEXT) | instid1(VALU_DEP_3)
	v_mul_u32_u24_e32 v11, 0x600, v2
	v_lshlrev_b32_e32 v8, 4, v13
	s_delay_alu instid0(VALU_DEP_3) | instskip(SKIP_2) | instid1(VALU_DEP_3)
	v_lshl_add_u32 v12, ttmp9, 2, v1
	v_lshlrev_b32_e32 v16, 3, v13
	v_lshlrev_b32_e32 v4, 2, v2
	v_mul_hi_u32 v1, s24, v12
	s_delay_alu instid0(VALU_DEP_3) | instskip(NEXT) | instid1(VALU_DEP_3)
	v_mad_u32_u24 v14, 0x600, v2, v16
	v_and_b32_e32 v26, 4, v4
	s_wait_kmcnt 0x0
	s_mul_i32 s16, s31, s13
	s_ashr_i32 s19, s13, 31
	s_delay_alu instid0(VALU_DEP_3)
	v_add_nc_u32_e32 v1, v12, v1
	s_mov_b32 s18, s13
	s_ashr_i32 s13, s12, 31
	s_ashr_i32 s17, s16, 31
	s_lshr_b64 s[4:5], s[12:13], 2
	v_lshrrev_b32_e32 v1, s25, v1
	s_lshr_b32 s2, s13, 2
	s_mul_i32 s12, s28, s14
	s_delay_alu instid0(SALU_CYCLE_1) | instskip(NEXT) | instid1(VALU_DEP_1)
	s_ashr_i32 s13, s12, 31
	v_mul_lo_u32 v1, v1, s26
	s_add_nc_u64 s[12:13], s[36:37], s[12:13]
	s_delay_alu instid0(SALU_CYCLE_1) | instskip(NEXT) | instid1(VALU_DEP_1)
	s_add_nc_u64 s[12:13], s[12:13], s[16:17]
	v_sub_nc_u32_e32 v3, v12, v1
	s_wait_alu 0xfffe
	s_delay_alu instid0(VALU_DEP_1) | instskip(SKIP_2) | instid1(VALU_DEP_1)
	v_mad_co_u64_u32 v[5:6], null, s4, v3, 0
	s_lshr_b64 s[4:5], s[18:19], 2
	v_mov_b32_e32 v1, v6
	v_mad_co_u64_u32 v[6:7], null, s2, v3, v[1:2]
	s_wait_alu 0xfffe
	v_mad_co_u64_u32 v[0:1], null, s4, v26, 0
	v_mul_i32_i24_e32 v7, s19, v26
	s_delay_alu instid0(VALU_DEP_3) | instskip(NEXT) | instid1(VALU_DEP_2)
	v_lshlrev_b64_e32 v[5:6], 2, v[5:6]
	v_or_b32_e32 v1, v1, v7
	s_delay_alu instid0(VALU_DEP_2) | instskip(NEXT) | instid1(VALU_DEP_1)
	v_add_co_u32 v5, vcc_lo, s12, v5
	v_add_co_ci_u32_e64 v6, null, s13, v6, vcc_lo
	s_delay_alu instid0(VALU_DEP_3) | instskip(NEXT) | instid1(VALU_DEP_3)
	v_lshlrev_b64_e32 v[0:1], 2, v[0:1]
	v_add_co_u32 v5, vcc_lo, v5, v8
	s_wait_alu 0xfffd
	s_delay_alu instid0(VALU_DEP_3) | instskip(NEXT) | instid1(VALU_DEP_2)
	v_add_co_ci_u32_e64 v6, null, 0, v6, vcc_lo
	v_add_co_u32 v0, vcc_lo, v5, v0
	s_wait_alu 0xfffd
	s_delay_alu instid0(VALU_DEP_2)
	v_add_co_ci_u32_e64 v1, null, v6, v1, vcc_lo
	v_cmp_gt_u32_e32 vcc_lo, 16, v13
	global_load_b128 v[7:10], v[0:1], off
	s_wait_loadcnt 0x0
	v_fma_mixlo_f16 v8, s7, v8, 0
	v_fma_mixlo_f16 v7, s7, v7, 0
	v_fma_mixlo_f16 v9, s7, v9, 0
	v_fma_mixlo_f16 v10, s7, v10, 0
	s_delay_alu instid0(VALU_DEP_4) | instskip(NEXT) | instid1(VALU_DEP_4)
	v_lshlrev_b32_e32 v8, 16, v8
	v_and_b32_e32 v7, 0xffff, v7
	s_delay_alu instid0(VALU_DEP_4) | instskip(NEXT) | instid1(VALU_DEP_4)
	v_and_b32_e32 v9, 0xffff, v9
	v_lshlrev_b32_e32 v10, 16, v10
	s_delay_alu instid0(VALU_DEP_3) | instskip(NEXT) | instid1(VALU_DEP_2)
	v_or_b32_e32 v7, v8, v7
	v_or3_b32 v8, v10, v9, 0
	s_delay_alu instid0(VALU_DEP_2)
	v_or3_b32 v7, 0, 0, v7
	ds_store_b64 v14, v[7:8]
	s_and_saveexec_b32 s2, vcc_lo
	s_cbranch_execz .LBB9_4
; %bb.3:
	global_load_b128 v[7:10], v[0:1], off offset:512
	s_wait_loadcnt 0x0
	v_fma_mixlo_f16 v0, s7, v8, 0
	v_fma_mixlo_f16 v1, s7, v7, 0
	;; [unrolled: 1-line block ×4, first 2 shown]
	s_delay_alu instid0(VALU_DEP_4) | instskip(NEXT) | instid1(VALU_DEP_4)
	v_lshlrev_b32_e32 v0, 16, v0
	v_and_b32_e32 v1, 0xffff, v1
	s_delay_alu instid0(VALU_DEP_4) | instskip(NEXT) | instid1(VALU_DEP_4)
	v_and_b32_e32 v7, 0xffff, v7
	v_lshlrev_b32_e32 v8, 16, v8
	s_delay_alu instid0(VALU_DEP_3) | instskip(NEXT) | instid1(VALU_DEP_2)
	v_or_b32_e32 v0, v0, v1
	v_or3_b32 v1, v8, v7, 0
	v_add_nc_u32_e32 v7, v16, v11
	s_delay_alu instid0(VALU_DEP_3)
	v_or3_b32 v0, 0, 0, v0
	ds_store_b64 v7, v[0:1] offset:256
.LBB9_4:
	s_wait_alu 0xfffe
	s_or_b32 exec_lo, exec_lo, s2
	v_or_b32_e32 v14, 1, v4
	s_delay_alu instid0(VALU_DEP_1) | instskip(SKIP_2) | instid1(VALU_DEP_3)
	v_and_b32_e32 v7, 5, v14
	v_mul_u32_u24_e32 v15, 0x180, v14
	v_mad_u32_u24 v14, 0x180, v14, v16
	v_mad_co_u64_u32 v[0:1], null, s4, v7, 0
	s_delay_alu instid0(VALU_DEP_1) | instskip(NEXT) | instid1(VALU_DEP_1)
	v_mad_co_u64_u32 v[7:8], null, s5, v7, v[1:2]
	v_mov_b32_e32 v1, v7
	s_delay_alu instid0(VALU_DEP_1) | instskip(NEXT) | instid1(VALU_DEP_1)
	v_lshlrev_b64_e32 v[0:1], 2, v[0:1]
	v_add_co_u32 v0, s2, v5, v0
	s_wait_alu 0xf1ff
	s_delay_alu instid0(VALU_DEP_2)
	v_add_co_ci_u32_e64 v1, null, v6, v1, s2
	global_load_b128 v[7:10], v[0:1], off
	s_wait_loadcnt 0x0
	v_fma_mixlo_f16 v8, s7, v8, 0
	v_fma_mixlo_f16 v7, s7, v7, 0
	;; [unrolled: 1-line block ×4, first 2 shown]
	s_delay_alu instid0(VALU_DEP_4) | instskip(NEXT) | instid1(VALU_DEP_4)
	v_lshlrev_b32_e32 v8, 16, v8
	v_and_b32_e32 v7, 0xffff, v7
	s_delay_alu instid0(VALU_DEP_4) | instskip(NEXT) | instid1(VALU_DEP_4)
	v_and_b32_e32 v9, 0xffff, v9
	v_lshlrev_b32_e32 v10, 16, v10
	s_delay_alu instid0(VALU_DEP_3) | instskip(NEXT) | instid1(VALU_DEP_2)
	v_or_b32_e32 v7, v8, v7
	v_or3_b32 v9, v10, v9, 0
	s_delay_alu instid0(VALU_DEP_2)
	v_or3_b32 v8, 0, 0, v7
	v_add_nc_u32_e32 v7, v16, v15
	ds_store_b64 v14, v[8:9]
	s_and_saveexec_b32 s2, vcc_lo
	s_cbranch_execz .LBB9_6
; %bb.5:
	global_load_b128 v[17:20], v[0:1], off offset:512
	s_wait_loadcnt 0x0
	v_fma_mixlo_f16 v0, s7, v18, 0
	v_fma_mixlo_f16 v1, s7, v17, 0
	;; [unrolled: 1-line block ×4, first 2 shown]
	s_delay_alu instid0(VALU_DEP_4) | instskip(NEXT) | instid1(VALU_DEP_4)
	v_lshlrev_b32_e32 v0, 16, v0
	v_and_b32_e32 v1, 0xffff, v1
	s_delay_alu instid0(VALU_DEP_4) | instskip(NEXT) | instid1(VALU_DEP_4)
	v_and_b32_e32 v8, 0xffff, v8
	v_lshlrev_b32_e32 v9, 16, v9
	s_delay_alu instid0(VALU_DEP_3) | instskip(NEXT) | instid1(VALU_DEP_2)
	v_or_b32_e32 v0, v0, v1
	v_or3_b32 v1, v9, v8, 0
	s_delay_alu instid0(VALU_DEP_2)
	v_or3_b32 v0, 0, 0, v0
	ds_store_b64 v7, v[0:1] offset:256
.LBB9_6:
	s_wait_alu 0xfffe
	s_or_b32 exec_lo, exec_lo, s2
	v_or_b32_e32 v0, 2, v4
	s_delay_alu instid0(VALU_DEP_1) | instskip(NEXT) | instid1(VALU_DEP_1)
	v_and_b32_e32 v8, 6, v0
	v_mad_co_u64_u32 v[0:1], null, s4, v8, 0
	s_delay_alu instid0(VALU_DEP_1) | instskip(NEXT) | instid1(VALU_DEP_1)
	v_mad_co_u64_u32 v[8:9], null, s5, v8, v[1:2]
	v_mov_b32_e32 v1, v8
	s_delay_alu instid0(VALU_DEP_1) | instskip(NEXT) | instid1(VALU_DEP_1)
	v_lshlrev_b64_e32 v[0:1], 2, v[0:1]
	v_add_co_u32 v0, s2, v5, v0
	s_wait_alu 0xf1ff
	s_delay_alu instid0(VALU_DEP_2)
	v_add_co_ci_u32_e64 v1, null, v6, v1, s2
	global_load_b128 v[17:20], v[0:1], off
	s_wait_loadcnt 0x0
	v_fma_mixlo_f16 v8, s7, v18, 0
	v_fma_mixlo_f16 v9, s7, v17, 0
	;; [unrolled: 1-line block ×4, first 2 shown]
	s_delay_alu instid0(VALU_DEP_4) | instskip(NEXT) | instid1(VALU_DEP_4)
	v_lshlrev_b32_e32 v8, 16, v8
	v_and_b32_e32 v9, 0xffff, v9
	s_delay_alu instid0(VALU_DEP_4) | instskip(NEXT) | instid1(VALU_DEP_4)
	v_and_b32_e32 v10, 0xffff, v10
	v_lshlrev_b32_e32 v14, 16, v14
	s_delay_alu instid0(VALU_DEP_3) | instskip(NEXT) | instid1(VALU_DEP_2)
	v_or_b32_e32 v8, v8, v9
	v_or3_b32 v9, v14, v10, 0
	s_delay_alu instid0(VALU_DEP_2)
	v_or3_b32 v8, 0, 0, v8
	ds_store_b64 v7, v[8:9] offset:384
	s_and_saveexec_b32 s2, vcc_lo
	s_cbranch_execz .LBB9_8
; %bb.7:
	global_load_b128 v[17:20], v[0:1], off offset:512
	s_wait_loadcnt 0x0
	v_fma_mixlo_f16 v0, s7, v18, 0
	v_fma_mixlo_f16 v1, s7, v17, 0
	v_fma_mixlo_f16 v8, s7, v19, 0
	v_fma_mixlo_f16 v9, s7, v20, 0
	s_delay_alu instid0(VALU_DEP_4) | instskip(NEXT) | instid1(VALU_DEP_4)
	v_lshlrev_b32_e32 v0, 16, v0
	v_and_b32_e32 v1, 0xffff, v1
	s_delay_alu instid0(VALU_DEP_4) | instskip(NEXT) | instid1(VALU_DEP_4)
	v_and_b32_e32 v8, 0xffff, v8
	v_lshlrev_b32_e32 v9, 16, v9
	s_delay_alu instid0(VALU_DEP_3) | instskip(NEXT) | instid1(VALU_DEP_2)
	v_or_b32_e32 v0, v0, v1
	v_or3_b32 v1, v9, v8, 0
	s_delay_alu instid0(VALU_DEP_2)
	v_or3_b32 v0, 0, 0, v0
	ds_store_b64 v7, v[0:1] offset:640
.LBB9_8:
	s_wait_alu 0xfffe
	s_or_b32 exec_lo, exec_lo, s2
	v_or_b32_e32 v0, 3, v4
	s_delay_alu instid0(VALU_DEP_1) | instskip(NEXT) | instid1(VALU_DEP_1)
	v_and_b32_e32 v8, 7, v0
	v_mad_co_u64_u32 v[0:1], null, s4, v8, 0
	s_delay_alu instid0(VALU_DEP_1) | instskip(NEXT) | instid1(VALU_DEP_1)
	v_mad_co_u64_u32 v[8:9], null, s5, v8, v[1:2]
	v_mov_b32_e32 v1, v8
	s_delay_alu instid0(VALU_DEP_1) | instskip(NEXT) | instid1(VALU_DEP_1)
	v_lshlrev_b64_e32 v[0:1], 2, v[0:1]
	v_add_co_u32 v0, s2, v5, v0
	s_wait_alu 0xf1ff
	s_delay_alu instid0(VALU_DEP_2)
	v_add_co_ci_u32_e64 v1, null, v6, v1, s2
	global_load_b128 v[17:20], v[0:1], off
	s_wait_loadcnt 0x0
	v_fma_mixlo_f16 v5, s7, v18, 0
	v_fma_mixlo_f16 v6, s7, v17, 0
	;; [unrolled: 1-line block ×4, first 2 shown]
	s_delay_alu instid0(VALU_DEP_4) | instskip(NEXT) | instid1(VALU_DEP_4)
	v_lshlrev_b32_e32 v5, 16, v5
	v_and_b32_e32 v6, 0xffff, v6
	s_delay_alu instid0(VALU_DEP_4) | instskip(NEXT) | instid1(VALU_DEP_4)
	v_and_b32_e32 v8, 0xffff, v8
	v_lshlrev_b32_e32 v9, 16, v9
	s_delay_alu instid0(VALU_DEP_3) | instskip(NEXT) | instid1(VALU_DEP_2)
	v_or_b32_e32 v5, v5, v6
	v_or3_b32 v6, v9, v8, 0
	s_delay_alu instid0(VALU_DEP_2)
	v_or3_b32 v5, 0, 0, v5
	ds_store_b64 v7, v[5:6] offset:768
	s_and_saveexec_b32 s2, vcc_lo
	s_cbranch_execz .LBB9_10
; %bb.9:
	global_load_b128 v[17:20], v[0:1], off offset:512
	s_wait_loadcnt 0x0
	v_fma_mixlo_f16 v0, s7, v18, 0
	v_fma_mixlo_f16 v1, s7, v17, 0
	;; [unrolled: 1-line block ×4, first 2 shown]
	s_delay_alu instid0(VALU_DEP_4) | instskip(NEXT) | instid1(VALU_DEP_4)
	v_lshlrev_b32_e32 v0, 16, v0
	v_and_b32_e32 v1, 0xffff, v1
	s_delay_alu instid0(VALU_DEP_4) | instskip(NEXT) | instid1(VALU_DEP_4)
	v_and_b32_e32 v5, 0xffff, v5
	v_lshlrev_b32_e32 v6, 16, v6
	s_delay_alu instid0(VALU_DEP_3) | instskip(NEXT) | instid1(VALU_DEP_2)
	v_or_b32_e32 v0, v0, v1
	v_or3_b32 v1, v6, v5, 0
	s_delay_alu instid0(VALU_DEP_2)
	v_or3_b32 v0, 0, 0, v0
	ds_store_b64 v7, v[0:1] offset:1024
.LBB9_10:
	s_wait_alu 0xfffe
	s_or_b32 exec_lo, exec_lo, s2
	s_cmp_eq_u64 s[46:47], 0
	s_wait_dscnt 0x0
	s_barrier_signal -1
	s_barrier_wait -1
	global_inv scope:SCOPE_SE
	s_cbranch_scc1 .LBB9_12
; %bb.11:
	s_load_b32 s2, s[0:1], 0xd0
	s_mov_b32 s5, 0
	s_wait_kmcnt 0x0
	s_mul_i32 s2, s2, s28
	s_wait_alu 0xfffe
	s_add_co_i32 s4, s2, ttmp9
	s_wait_alu 0xfffe
	s_lshl_b64 s[4:5], s[4:5], 2
	s_wait_alu 0xfffe
	s_add_nc_u64 s[4:5], s[46:47], s[4:5]
	s_load_b32 s34, s[4:5], 0x0
.LBB9_12:
	s_and_b32 s30, ttmp7, 0xffff
	v_mbcnt_lo_u32_b32 v28, -1, 0
	s_lshl_b32 s36, s30, 6
	s_wait_kmcnt 0x0
	s_cmp_lt_i32 s36, s34
	s_cbranch_scc1 .LBB9_15
; %bb.13:
	v_mbcnt_lo_u32_b32 v6, -1, 0
	v_mov_b32_e32 v5, 32
	s_delay_alu instid0(VALU_DEP_2)
	v_xor_b32_e32 v33, 16, v6
	v_xor_b32_e32 v32, 8, v6
	;; [unrolled: 1-line block ×5, first 2 shown]
	v_lshlrev_b32_e32 v27, 2, v13
	s_mov_b32 s29, 0
	s_cbranch_execz .LBB9_16
; %bb.14:
	v_dual_mov_b32 v53, 0 :: v_dual_mov_b32 v2, 0xfeffffff
	v_dual_mov_b32 v21, 0 :: v_dual_mov_b32 v0, 0xfeffffff
	;; [unrolled: 1-line block ×8, first 2 shown]
	s_branch .LBB9_19
.LBB9_15:
                                        ; implicit-def: $vgpr6
                                        ; implicit-def: $vgpr5
                                        ; implicit-def: $vgpr33
                                        ; implicit-def: $vgpr32
                                        ; implicit-def: $vgpr31
                                        ; implicit-def: $vgpr30
                                        ; implicit-def: $vgpr29
	v_lshlrev_b32_e32 v27, 2, v13
	s_mov_b32 s29, 0
.LBB9_16:
	s_mul_f32 s2, s6, 0x4f7ffffe
	s_clause 0x1
	s_load_b128 s[4:7], s[0:1], 0x98
	s_load_b64 s[12:13], s[0:1], 0x8c
	s_sub_co_i32 s14, 0, s10
	v_lshrrev_b32_e32 v0, 3, v13
	s_cvt_u32_f32 s8, s2
	v_dual_mov_b32 v47, 0 :: v_dual_and_b32 v10, 28, v27
	s_abs_i32 s2, s31
	s_delay_alu instid0(SALU_CYCLE_1)
	s_mul_i32 s14, s14, s8
	v_dual_mov_b32 v49, 0 :: v_dual_add_nc_u32 v0, v0, v4
	s_mul_hi_u32 s14, s8, s14
	v_lshrrev_b32_e32 v4, 4, v13
	s_mov_b32 s15, s3
	s_add_co_i32 s14, s8, s14
	v_lshlrev_b32_e32 v1, 2, v10
	s_wait_alu 0xfffe
	s_mul_u64 s[14:15], s[2:3], s[14:15]
	v_lshl_add_u32 v4, v2, 1, v4
	s_mul_i32 s3, s15, s10
	s_ashr_i32 s18, s31, 31
	s_ashr_i32 s11, s11, 31
	s_wait_alu 0xfffe
	s_sub_co_i32 s2, s2, s3
	s_load_b64 s[16:17], s[0:1], 0xa8
	s_wait_kmcnt 0x0
	s_ashr_i32 s42, s6, 2
	s_ashr_i32 s46, s12, 2
	v_dual_mov_b32 v50, 0 :: v_dual_and_b32 v17, 60, v27
	s_ashr_i32 s14, s9, 1
	s_xor_b32 s8, s18, s11
	s_add_co_i32 s9, s15, 1
	s_sub_co_i32 s3, s2, s10
	s_cmp_ge_u32 s2, s10
	v_mul_lo_u32 v6, s46, v0
	v_mad_u32_u24 v0, 0x90, v0, v1
	v_mul_lo_u32 v1, s42, v4
	s_cselect_b32 s6, s9, s15
	s_wait_alu 0xfffe
	s_cselect_b32 s2, s3, s2
	v_dual_mov_b32 v48, 0 :: v_dual_lshlrev_b32 v5, 2, v17
	s_add_co_i32 s3, s6, 1
	s_wait_alu 0xfffe
	s_cmp_ge_u32 s2, s10
	v_dual_mov_b32 v51, 0 :: v_dual_add_nc_u32 v34, 0x3000, v0
	s_cselect_b32 s6, s3, s6
	v_lshl_add_u32 v8, s46, 5, v6
	v_dual_mov_b32 v52, 0 :: v_dual_add_nc_u32 v35, 0x4200, v0
	v_lshl_or_b32 v0, v4, 8, v5
	v_mad_co_u64_u32 v[4:5], null, v3, s14, v[13:14]
	v_lshl_add_u32 v14, s42, 4, v1
	s_wait_alu 0xfffe
	s_xor_b32 s6, s6, s8
	s_mul_u64 s[2:3], s[4:5], s[28:29]
	s_wait_alu 0xfffe
	s_sub_co_i32 s6, s6, s8
	v_ashrrev_i32_e32 v7, 31, v6
	s_wait_alu 0xfffe
	s_mul_i32 s8, s6, s13
	v_ashrrev_i32_e32 v9, 31, v8
	v_lshl_add_u32 v37, v2, 9, 0x5400
	v_ashrrev_i32_e32 v2, 31, v1
	v_ashrrev_i32_e32 v15, 31, v14
	s_add_nc_u64 s[2:3], s[38:39], s[2:3]
	s_ashr_i32 s9, s8, 31
	s_mul_u64 s[4:5], s[16:17], s[28:29]
	s_wait_alu 0xfffe
	s_add_nc_u64 s[38:39], s[2:3], s[8:9]
	s_movk_i32 s2, 0x3000
	s_mul_i32 s6, s6, s7
	v_lshlrev_b64_e32 v[5:6], 2, v[6:7]
	v_lshlrev_b32_e32 v40, 2, v10
	v_lshlrev_b64_e32 v[7:8], 2, v[8:9]
	v_lshlrev_b64_e32 v[9:10], 2, v[1:2]
	;; [unrolled: 1-line block ×3, first 2 shown]
	s_wait_alu 0xfffe
	v_mad_u32_u24 v36, 0x90, v13, s2
	v_dual_mov_b32 v53, 0 :: v_dual_add_nc_u32 v38, 0x3000, v0
	v_dual_mov_b32 v54, 0 :: v_dual_add_nc_u32 v39, 0x4000, v0
	v_mov_b32_e32 v0, 0xfeffffff
	v_xor_b32_e32 v33, 16, v28
	v_xor_b32_e32 v32, 8, v28
	;; [unrolled: 1-line block ×5, first 2 shown]
	v_dual_mov_b32 v2, 0xfeffffff :: v_dual_add_nc_u32 v41, v37, v16
	v_dual_mov_b32 v3, 0xfeffffff :: v_dual_lshlrev_b32 v42, 2, v17
	v_dual_mov_b32 v22, 0 :: v_dual_add_nc_u32 v43, 0x3000, v16
	v_dual_mov_b32 v23, 0 :: v_dual_add_nc_u32 v44, 0x3800, v16
	v_dual_mov_b32 v20, 0 :: v_dual_add_nc_u32 v45, 0x4000, v16
	v_dual_mov_b32 v21, 0 :: v_dual_add_nc_u32 v46, 0x4800, v16
	v_mov_b32_e32 v1, 0xfeffffff
	s_add_nc_u64 s[4:5], s[40:41], s[4:5]
	s_ashr_i32 s7, s6, 31
	s_ashr_i32 s47, s46, 31
	s_wait_alu 0xfffe
	s_add_nc_u64 s[40:41], s[4:5], s[6:7]
	s_ashr_i32 s43, s42, 31
	s_add_nc_u64 s[54:55], s[0:1], 0xd0
.LBB9_17:                               ; =>This Inner Loop Header: Depth=1
	v_cmp_gt_i32_e32 vcc_lo, 32, v33
	v_cmp_gt_i32_e64 s3, 32, v31
	v_cmp_gt_i32_e64 s2, 32, v32
	s_ashr_i32 s37, s36, 31
	v_cmp_gt_i32_e64 s5, 32, v29
	s_or_b32 s6, s36, 32
	v_dual_mov_b32 v57, v1 :: v_dual_mov_b32 v58, v0
	v_dual_mov_b32 v69, v22 :: v_dual_add_nc_u32 v0, s36, v4
	s_wait_alu 0xfffe
	s_mul_u64 s[8:9], s[36:37], s[46:47]
	v_dual_mov_b32 v55, v3 :: v_dual_mov_b32 v56, v2
	v_cmp_gt_i32_e64 s4, 32, v30
	s_ashr_i32 s7, s6, 31
	v_cndmask_b32_e64 v16, v28, v31, s3
	s_wait_alu 0xfffd
	v_cndmask_b32_e32 v2, v28, v33, vcc_lo
	v_cndmask_b32_e64 v3, v28, v32, s2
	s_wait_alu 0xfffe
	s_lshl_b64 s[2:3], s[8:9], 2
	s_mul_u64 s[6:7], s[6:7], s[42:43]
	v_cndmask_b32_e64 v18, v28, v29, s5
	s_wait_alu 0xfffe
	s_add_nc_u64 s[8:9], s[38:39], s[2:3]
	s_mul_u64 s[10:11], s[36:37], s[42:43]
	v_ashrrev_i32_e32 v1, 31, v0
	s_lshl_b64 s[6:7], s[6:7], 2
	v_cndmask_b32_e64 v17, v28, v30, s4
	v_dual_mov_b32 v70, v20 :: v_dual_lshlrev_b32 v73, 2, v16
	v_lshlrev_b32_e32 v75, 2, v2
	s_wait_alu 0xfffe
	v_add_co_u32 v2, vcc_lo, s8, v5
	s_lshl_b64 s[4:5], s[10:11], 2
	v_lshlrev_b32_e32 v74, 2, v3
	v_add_co_u32 v3, s2, s8, v7
	s_add_nc_u64 s[6:7], s[40:41], s[6:7]
	v_lshlrev_b32_e32 v71, 2, v18
	s_wait_alu 0xfffd
	v_add_co_ci_u32_e64 v18, null, s9, v6, vcc_lo
	s_wait_alu 0xfffe
	s_add_nc_u64 s[4:5], s[40:41], s[4:5]
	v_add_co_ci_u32_e64 v19, null, s9, v8, s2
	v_add_co_u32 v78, vcc_lo, s6, v9
	v_lshlrev_b64_e32 v[0:1], 1, v[0:1]
	v_add_co_u32 v79, s2, s6, v14
	v_lshlrev_b32_e32 v72, 2, v17
	s_wait_alu 0xfffe
	v_add_co_u32 v16, s3, s4, v9
	v_add_co_u32 v17, s4, s4, v14
	s_wait_alu 0xfffd
	v_add_co_ci_u32_e64 v80, null, s7, v10, vcc_lo
	v_add_co_u32 v22, vcc_lo, v2, v40
	s_wait_alu 0xf1ff
	v_add_co_ci_u32_e64 v81, null, s7, v15, s2
	v_add_co_u32 v24, s2, v3, v40
	v_dual_mov_b32 v68, v23 :: v_dual_mov_b32 v67, v21
	v_add_co_ci_u32_e64 v76, null, s5, v10, s3
	v_add_co_ci_u32_e64 v77, null, s5, v15, s4
	s_wait_alu 0xfffd
	v_add_co_ci_u32_e64 v23, null, 0, v18, vcc_lo
	s_wait_alu 0xf1ff
	v_add_co_ci_u32_e64 v25, null, 0, v19, s2
	v_add_co_u32 v20, s3, s52, v0
	v_add_co_u32 v0, s4, v16, v42
	;; [unrolled: 1-line block ×3, first 2 shown]
	v_add_co_u32 v18, vcc_lo, v78, v42
	v_add_co_u32 v16, s2, v79, v42
	s_wait_alu 0xf1ff
	v_add_co_ci_u32_e64 v21, null, s53, v1, s3
	v_add_co_ci_u32_e64 v1, null, 0, v76, s4
	;; [unrolled: 1-line block ×3, first 2 shown]
	s_wait_alu 0xfffd
	v_add_co_ci_u32_e64 v19, null, 0, v80, vcc_lo
	v_add_co_ci_u32_e64 v17, null, 0, v81, s2
	s_clause 0x1
	global_load_b128 v[76:79], v[22:23], off
	global_load_b128 v[80:83], v[24:25], off
	v_dual_mov_b32 v59, 0 :: v_dual_mov_b32 v60, 0
	v_dual_mov_b32 v61, 0 :: v_dual_mov_b32 v62, 0
	;; [unrolled: 1-line block ×4, first 2 shown]
	s_wait_loadcnt 0x1
	ds_store_b128 v34, v[76:79]
	s_wait_loadcnt 0x0
	ds_store_b128 v35, v[80:83]
	s_wait_dscnt 0x0
	s_barrier_signal -1
	s_barrier_wait -1
	global_inv scope:SCOPE_SE
	ds_load_b128 v[76:79], v36
	ds_load_b128 v[80:83], v11
	ds_load_b128 v[84:87], v11 offset:384
	ds_load_b128 v[88:91], v11 offset:768
	;; [unrolled: 1-line block ×4, first 2 shown]
	s_wait_dscnt 0x4
	;;#ASMSTART
	v_dot2_f32_f16 v59, v76, v80, v59
	;;#ASMEND
	;;#ASMSTART
	v_dot2_f32_f16 v59, v77, v81, v59
	;;#ASMEND
	;;#ASMSTART
	v_dot2_f32_f16 v59, v78, v82, v59
	;;#ASMEND
	;;#ASMSTART
	v_dot2_f32_f16 v59, v79, v83, v59
	;;#ASMEND
	s_wait_dscnt 0x3
	;;#ASMSTART
	v_dot2_f32_f16 v60, v76, v84, v60
	;;#ASMEND
	;;#ASMSTART
	v_dot2_f32_f16 v60, v77, v85, v60
	;;#ASMEND
	;;#ASMSTART
	v_dot2_f32_f16 v60, v78, v86, v60
	;;#ASMEND
	;;#ASMSTART
	v_dot2_f32_f16 v60, v79, v87, v60
	;;#ASMEND
	;; [unrolled: 13-line block ×5, first 2 shown]
	;;#ASMSTART
	v_dot2_f32_f16 v64, v96, v84, v64
	;;#ASMEND
	;;#ASMSTART
	v_dot2_f32_f16 v64, v97, v85, v64
	;;#ASMEND
	;; [unrolled: 3-line block ×12, first 2 shown]
	ds_load_b128 v[76:79], v36 offset:16
	ds_load_b128 v[80:83], v11 offset:16
	;; [unrolled: 1-line block ×6, first 2 shown]
	s_wait_dscnt 0x4
	;;#ASMSTART
	v_dot2_f32_f16 v59, v76, v80, v59
	;;#ASMEND
	;;#ASMSTART
	v_dot2_f32_f16 v59, v77, v81, v59
	;;#ASMEND
	;;#ASMSTART
	v_dot2_f32_f16 v59, v78, v82, v59
	;;#ASMEND
	;;#ASMSTART
	v_dot2_f32_f16 v59, v79, v83, v59
	;;#ASMEND
	s_wait_dscnt 0x3
	;;#ASMSTART
	v_dot2_f32_f16 v60, v76, v84, v60
	;;#ASMEND
	;;#ASMSTART
	v_dot2_f32_f16 v60, v77, v85, v60
	;;#ASMEND
	;;#ASMSTART
	v_dot2_f32_f16 v60, v78, v86, v60
	;;#ASMEND
	;;#ASMSTART
	v_dot2_f32_f16 v60, v79, v87, v60
	;;#ASMEND
	;; [unrolled: 13-line block ×5, first 2 shown]
	;;#ASMSTART
	v_dot2_f32_f16 v64, v96, v84, v64
	;;#ASMEND
	;;#ASMSTART
	v_dot2_f32_f16 v64, v97, v85, v64
	;;#ASMEND
	;; [unrolled: 3-line block ×12, first 2 shown]
	ds_load_b128 v[76:79], v36 offset:32
	ds_load_b128 v[80:83], v11 offset:32
	;; [unrolled: 1-line block ×6, first 2 shown]
	s_wait_dscnt 0x4
	;;#ASMSTART
	v_dot2_f32_f16 v59, v76, v80, v59
	;;#ASMEND
	;;#ASMSTART
	v_dot2_f32_f16 v59, v77, v81, v59
	;;#ASMEND
	;;#ASMSTART
	v_dot2_f32_f16 v59, v78, v82, v59
	;;#ASMEND
	;;#ASMSTART
	v_dot2_f32_f16 v59, v79, v83, v59
	;;#ASMEND
	s_wait_dscnt 0x3
	;;#ASMSTART
	v_dot2_f32_f16 v60, v76, v84, v60
	;;#ASMEND
	;;#ASMSTART
	v_dot2_f32_f16 v60, v77, v85, v60
	;;#ASMEND
	;;#ASMSTART
	v_dot2_f32_f16 v60, v78, v86, v60
	;;#ASMEND
	;;#ASMSTART
	v_dot2_f32_f16 v60, v79, v87, v60
	;;#ASMEND
	s_wait_dscnt 0x2
	;;#ASMSTART
	v_dot2_f32_f16 v61, v76, v88, v61
	;;#ASMEND
	;;#ASMSTART
	v_dot2_f32_f16 v61, v77, v89, v61
	;;#ASMEND
	;;#ASMSTART
	v_dot2_f32_f16 v61, v78, v90, v61
	;;#ASMEND
	;;#ASMSTART
	v_dot2_f32_f16 v61, v79, v91, v61
	;;#ASMEND
	s_wait_dscnt 0x1
	;;#ASMSTART
	v_dot2_f32_f16 v62, v76, v92, v62
	;;#ASMEND
	;;#ASMSTART
	v_dot2_f32_f16 v62, v77, v93, v62
	;;#ASMEND
	;;#ASMSTART
	v_dot2_f32_f16 v62, v78, v94, v62
	;;#ASMEND
	;;#ASMSTART
	v_dot2_f32_f16 v62, v79, v95, v62
	;;#ASMEND
	s_wait_dscnt 0x0
	;;#ASMSTART
	v_dot2_f32_f16 v63, v96, v80, v63
	;;#ASMEND
	;;#ASMSTART
	v_dot2_f32_f16 v63, v97, v81, v63
	;;#ASMEND
	;;#ASMSTART
	v_dot2_f32_f16 v63, v98, v82, v63
	;;#ASMEND
	;;#ASMSTART
	v_dot2_f32_f16 v63, v99, v83, v63
	;;#ASMEND
	;;#ASMSTART
	v_dot2_f32_f16 v64, v96, v84, v64
	;;#ASMEND
	;;#ASMSTART
	v_dot2_f32_f16 v64, v97, v85, v64
	;;#ASMEND
	;; [unrolled: 3-line block ×12, first 2 shown]
	ds_load_b128 v[76:79], v36 offset:48
	ds_load_b128 v[80:83], v11 offset:48
	;; [unrolled: 1-line block ×6, first 2 shown]
	s_wait_dscnt 0x4
	;;#ASMSTART
	v_dot2_f32_f16 v59, v76, v80, v59
	;;#ASMEND
	;;#ASMSTART
	v_dot2_f32_f16 v59, v77, v81, v59
	;;#ASMEND
	;;#ASMSTART
	v_dot2_f32_f16 v59, v78, v82, v59
	;;#ASMEND
	;;#ASMSTART
	v_dot2_f32_f16 v59, v79, v83, v59
	;;#ASMEND
	s_wait_dscnt 0x3
	;;#ASMSTART
	v_dot2_f32_f16 v60, v76, v84, v60
	;;#ASMEND
	;;#ASMSTART
	v_dot2_f32_f16 v60, v77, v85, v60
	;;#ASMEND
	;;#ASMSTART
	v_dot2_f32_f16 v60, v78, v86, v60
	;;#ASMEND
	;;#ASMSTART
	v_dot2_f32_f16 v60, v79, v87, v60
	;;#ASMEND
	;; [unrolled: 13-line block ×5, first 2 shown]
	;;#ASMSTART
	v_dot2_f32_f16 v64, v96, v84, v64
	;;#ASMEND
	;;#ASMSTART
	v_dot2_f32_f16 v64, v97, v85, v64
	;;#ASMEND
	;; [unrolled: 3-line block ×12, first 2 shown]
	ds_load_b128 v[76:79], v36 offset:64
	ds_load_b128 v[80:83], v11 offset:64
	;; [unrolled: 1-line block ×6, first 2 shown]
	s_wait_dscnt 0x4
	;;#ASMSTART
	v_dot2_f32_f16 v59, v76, v80, v59
	;;#ASMEND
	;;#ASMSTART
	v_dot2_f32_f16 v59, v77, v81, v59
	;;#ASMEND
	;;#ASMSTART
	v_dot2_f32_f16 v59, v78, v82, v59
	;;#ASMEND
	;;#ASMSTART
	v_dot2_f32_f16 v59, v79, v83, v59
	;;#ASMEND
	s_wait_dscnt 0x3
	;;#ASMSTART
	v_dot2_f32_f16 v60, v76, v84, v60
	;;#ASMEND
	;;#ASMSTART
	v_dot2_f32_f16 v60, v77, v85, v60
	;;#ASMEND
	;;#ASMSTART
	v_dot2_f32_f16 v60, v78, v86, v60
	;;#ASMEND
	;;#ASMSTART
	v_dot2_f32_f16 v60, v79, v87, v60
	;;#ASMEND
	;; [unrolled: 13-line block ×5, first 2 shown]
	;;#ASMSTART
	v_dot2_f32_f16 v64, v96, v84, v64
	;;#ASMEND
	;;#ASMSTART
	v_dot2_f32_f16 v64, v97, v85, v64
	;;#ASMEND
	;; [unrolled: 3-line block ×12, first 2 shown]
	ds_load_b128 v[76:79], v36 offset:80
	ds_load_b128 v[80:83], v11 offset:80
	;; [unrolled: 1-line block ×6, first 2 shown]
	s_wait_dscnt 0x4
	;;#ASMSTART
	v_dot2_f32_f16 v59, v76, v80, v59
	;;#ASMEND
	;;#ASMSTART
	v_dot2_f32_f16 v59, v77, v81, v59
	;;#ASMEND
	;;#ASMSTART
	v_dot2_f32_f16 v59, v78, v82, v59
	;;#ASMEND
	;;#ASMSTART
	v_dot2_f32_f16 v59, v79, v83, v59
	;;#ASMEND
	s_wait_dscnt 0x3
	;;#ASMSTART
	v_dot2_f32_f16 v60, v76, v84, v60
	;;#ASMEND
	;;#ASMSTART
	v_dot2_f32_f16 v60, v77, v85, v60
	;;#ASMEND
	;;#ASMSTART
	v_dot2_f32_f16 v60, v78, v86, v60
	;;#ASMEND
	;;#ASMSTART
	v_dot2_f32_f16 v60, v79, v87, v60
	;;#ASMEND
	s_wait_dscnt 0x2
	;;#ASMSTART
	v_dot2_f32_f16 v61, v76, v88, v61
	;;#ASMEND
	;;#ASMSTART
	v_dot2_f32_f16 v61, v77, v89, v61
	;;#ASMEND
	;;#ASMSTART
	v_dot2_f32_f16 v61, v78, v90, v61
	;;#ASMEND
	;;#ASMSTART
	v_dot2_f32_f16 v61, v79, v91, v61
	;;#ASMEND
	s_wait_dscnt 0x1
	;;#ASMSTART
	v_dot2_f32_f16 v62, v76, v92, v62
	;;#ASMEND
	;;#ASMSTART
	v_dot2_f32_f16 v62, v77, v93, v62
	;;#ASMEND
	;;#ASMSTART
	v_dot2_f32_f16 v62, v78, v94, v62
	;;#ASMEND
	;;#ASMSTART
	v_dot2_f32_f16 v62, v79, v95, v62
	;;#ASMEND
	s_wait_dscnt 0x0
	;;#ASMSTART
	v_dot2_f32_f16 v63, v96, v80, v63
	;;#ASMEND
	;;#ASMSTART
	v_dot2_f32_f16 v63, v97, v81, v63
	;;#ASMEND
	;;#ASMSTART
	v_dot2_f32_f16 v63, v98, v82, v63
	;;#ASMEND
	;;#ASMSTART
	v_dot2_f32_f16 v63, v99, v83, v63
	;;#ASMEND
	;;#ASMSTART
	v_dot2_f32_f16 v64, v96, v84, v64
	;;#ASMEND
	;;#ASMSTART
	v_dot2_f32_f16 v64, v97, v85, v64
	;;#ASMEND
	;; [unrolled: 3-line block ×12, first 2 shown]
	ds_load_b128 v[76:79], v36 offset:96
	ds_load_b128 v[80:83], v11 offset:96
	;; [unrolled: 1-line block ×6, first 2 shown]
	s_wait_dscnt 0x4
	;;#ASMSTART
	v_dot2_f32_f16 v59, v76, v80, v59
	;;#ASMEND
	;;#ASMSTART
	v_dot2_f32_f16 v59, v77, v81, v59
	;;#ASMEND
	;;#ASMSTART
	v_dot2_f32_f16 v59, v78, v82, v59
	;;#ASMEND
	;;#ASMSTART
	v_dot2_f32_f16 v59, v79, v83, v59
	;;#ASMEND
	s_wait_dscnt 0x3
	;;#ASMSTART
	v_dot2_f32_f16 v60, v76, v84, v60
	;;#ASMEND
	;;#ASMSTART
	v_dot2_f32_f16 v60, v77, v85, v60
	;;#ASMEND
	;;#ASMSTART
	v_dot2_f32_f16 v60, v78, v86, v60
	;;#ASMEND
	;;#ASMSTART
	v_dot2_f32_f16 v60, v79, v87, v60
	;;#ASMEND
	;; [unrolled: 13-line block ×5, first 2 shown]
	;;#ASMSTART
	v_dot2_f32_f16 v64, v96, v84, v64
	;;#ASMEND
	;;#ASMSTART
	v_dot2_f32_f16 v64, v97, v85, v64
	;;#ASMEND
	;; [unrolled: 3-line block ×12, first 2 shown]
	ds_load_b128 v[76:79], v36 offset:112
	ds_load_b128 v[80:83], v11 offset:112
	;; [unrolled: 1-line block ×6, first 2 shown]
	s_wait_dscnt 0x4
	;;#ASMSTART
	v_dot2_f32_f16 v59, v76, v80, v59
	;;#ASMEND
	;;#ASMSTART
	v_dot2_f32_f16 v59, v77, v81, v59
	;;#ASMEND
	;;#ASMSTART
	v_dot2_f32_f16 v59, v78, v82, v59
	;;#ASMEND
	;;#ASMSTART
	v_dot2_f32_f16 v59, v79, v83, v59
	;;#ASMEND
	s_wait_dscnt 0x3
	;;#ASMSTART
	v_dot2_f32_f16 v60, v76, v84, v60
	;;#ASMEND
	;;#ASMSTART
	v_dot2_f32_f16 v60, v77, v85, v60
	;;#ASMEND
	;;#ASMSTART
	v_dot2_f32_f16 v60, v78, v86, v60
	;;#ASMEND
	;;#ASMSTART
	v_dot2_f32_f16 v60, v79, v87, v60
	;;#ASMEND
	s_wait_dscnt 0x2
	;;#ASMSTART
	v_dot2_f32_f16 v61, v76, v88, v61
	;;#ASMEND
	;;#ASMSTART
	v_dot2_f32_f16 v61, v77, v89, v61
	;;#ASMEND
	;;#ASMSTART
	v_dot2_f32_f16 v61, v78, v90, v61
	;;#ASMEND
	;;#ASMSTART
	v_dot2_f32_f16 v61, v79, v91, v61
	;;#ASMEND
	s_wait_dscnt 0x1
	;;#ASMSTART
	v_dot2_f32_f16 v62, v76, v92, v62
	;;#ASMEND
	;;#ASMSTART
	v_dot2_f32_f16 v62, v77, v93, v62
	;;#ASMEND
	;;#ASMSTART
	v_dot2_f32_f16 v62, v78, v94, v62
	;;#ASMEND
	;;#ASMSTART
	v_dot2_f32_f16 v62, v79, v95, v62
	;;#ASMEND
	s_wait_dscnt 0x0
	;;#ASMSTART
	v_dot2_f32_f16 v63, v96, v80, v63
	;;#ASMEND
	;;#ASMSTART
	v_dot2_f32_f16 v63, v97, v81, v63
	;;#ASMEND
	;;#ASMSTART
	v_dot2_f32_f16 v63, v98, v82, v63
	;;#ASMEND
	;;#ASMSTART
	v_dot2_f32_f16 v63, v99, v83, v63
	;;#ASMEND
	;;#ASMSTART
	v_dot2_f32_f16 v64, v96, v84, v64
	;;#ASMEND
	;;#ASMSTART
	v_dot2_f32_f16 v64, v97, v85, v64
	;;#ASMEND
	;; [unrolled: 3-line block ×12, first 2 shown]
	s_wait_loadcnt 0x0
	s_barrier_signal -1
	s_barrier_wait -1
	global_inv scope:SCOPE_SE
	s_clause 0x1
	global_load_b128 v[76:79], v[22:23], off offset:128
	global_load_b128 v[80:83], v[24:25], off offset:128
	s_wait_loadcnt 0x1
	ds_store_b128 v34, v[76:79]
	s_wait_loadcnt 0x0
	ds_store_b128 v35, v[80:83]
	s_wait_dscnt 0x0
	s_barrier_signal -1
	s_barrier_wait -1
	global_inv scope:SCOPE_SE
	ds_load_b128 v[76:79], v36
	ds_load_b128 v[80:83], v11 offset:128
	ds_load_b128 v[84:87], v11 offset:512
	;; [unrolled: 1-line block ×5, first 2 shown]
	s_wait_dscnt 0x4
	;;#ASMSTART
	v_dot2_f32_f16 v59, v76, v80, v59
	;;#ASMEND
	;;#ASMSTART
	v_dot2_f32_f16 v59, v77, v81, v59
	;;#ASMEND
	;;#ASMSTART
	v_dot2_f32_f16 v59, v78, v82, v59
	;;#ASMEND
	;;#ASMSTART
	v_dot2_f32_f16 v59, v79, v83, v59
	;;#ASMEND
	s_wait_dscnt 0x3
	;;#ASMSTART
	v_dot2_f32_f16 v60, v76, v84, v60
	;;#ASMEND
	;;#ASMSTART
	v_dot2_f32_f16 v60, v77, v85, v60
	;;#ASMEND
	;;#ASMSTART
	v_dot2_f32_f16 v60, v78, v86, v60
	;;#ASMEND
	;;#ASMSTART
	v_dot2_f32_f16 v60, v79, v87, v60
	;;#ASMEND
	;; [unrolled: 13-line block ×5, first 2 shown]
	;;#ASMSTART
	v_dot2_f32_f16 v64, v96, v84, v64
	;;#ASMEND
	;;#ASMSTART
	v_dot2_f32_f16 v64, v97, v85, v64
	;;#ASMEND
	;; [unrolled: 3-line block ×12, first 2 shown]
	ds_load_b128 v[76:79], v36 offset:16
	ds_load_b128 v[80:83], v11 offset:144
	ds_load_b128 v[84:87], v11 offset:528
	ds_load_b128 v[88:91], v11 offset:912
	ds_load_b128 v[92:95], v11 offset:1296
	ds_load_b128 v[96:99], v36 offset:4624
	s_wait_dscnt 0x4
	;;#ASMSTART
	v_dot2_f32_f16 v59, v76, v80, v59
	;;#ASMEND
	;;#ASMSTART
	v_dot2_f32_f16 v59, v77, v81, v59
	;;#ASMEND
	;;#ASMSTART
	v_dot2_f32_f16 v59, v78, v82, v59
	;;#ASMEND
	;;#ASMSTART
	v_dot2_f32_f16 v59, v79, v83, v59
	;;#ASMEND
	s_wait_dscnt 0x3
	;;#ASMSTART
	v_dot2_f32_f16 v60, v76, v84, v60
	;;#ASMEND
	;;#ASMSTART
	v_dot2_f32_f16 v60, v77, v85, v60
	;;#ASMEND
	;;#ASMSTART
	v_dot2_f32_f16 v60, v78, v86, v60
	;;#ASMEND
	;;#ASMSTART
	v_dot2_f32_f16 v60, v79, v87, v60
	;;#ASMEND
	;; [unrolled: 13-line block ×5, first 2 shown]
	;;#ASMSTART
	v_dot2_f32_f16 v64, v96, v84, v64
	;;#ASMEND
	;;#ASMSTART
	v_dot2_f32_f16 v64, v97, v85, v64
	;;#ASMEND
	;; [unrolled: 3-line block ×12, first 2 shown]
	ds_load_b128 v[76:79], v36 offset:32
	ds_load_b128 v[80:83], v11 offset:160
	;; [unrolled: 1-line block ×6, first 2 shown]
	s_wait_dscnt 0x4
	;;#ASMSTART
	v_dot2_f32_f16 v59, v76, v80, v59
	;;#ASMEND
	;;#ASMSTART
	v_dot2_f32_f16 v59, v77, v81, v59
	;;#ASMEND
	;;#ASMSTART
	v_dot2_f32_f16 v59, v78, v82, v59
	;;#ASMEND
	;;#ASMSTART
	v_dot2_f32_f16 v59, v79, v83, v59
	;;#ASMEND
	s_wait_dscnt 0x3
	;;#ASMSTART
	v_dot2_f32_f16 v60, v76, v84, v60
	;;#ASMEND
	;;#ASMSTART
	v_dot2_f32_f16 v60, v77, v85, v60
	;;#ASMEND
	;;#ASMSTART
	v_dot2_f32_f16 v60, v78, v86, v60
	;;#ASMEND
	;;#ASMSTART
	v_dot2_f32_f16 v60, v79, v87, v60
	;;#ASMEND
	;; [unrolled: 13-line block ×5, first 2 shown]
	;;#ASMSTART
	v_dot2_f32_f16 v64, v96, v84, v64
	;;#ASMEND
	;;#ASMSTART
	v_dot2_f32_f16 v64, v97, v85, v64
	;;#ASMEND
	;;#ASMSTART
	v_dot2_f32_f16 v64, v98, v86, v64
	;;#ASMEND
	;;#ASMSTART
	v_dot2_f32_f16 v64, v99, v87, v64
	;;#ASMEND
	;;#ASMSTART
	v_dot2_f32_f16 v65, v96, v88, v65
	;;#ASMEND
	;;#ASMSTART
	v_dot2_f32_f16 v65, v97, v89, v65
	;;#ASMEND
	;;#ASMSTART
	v_dot2_f32_f16 v65, v98, v90, v65
	;;#ASMEND
	;;#ASMSTART
	v_dot2_f32_f16 v65, v99, v91, v65
	;;#ASMEND
	;;#ASMSTART
	v_dot2_f32_f16 v66, v96, v92, v66
	;;#ASMEND
	;;#ASMSTART
	v_dot2_f32_f16 v66, v97, v93, v66
	;;#ASMEND
	;;#ASMSTART
	v_dot2_f32_f16 v66, v98, v94, v66
	;;#ASMEND
	;;#ASMSTART
	v_dot2_f32_f16 v66, v99, v95, v66
	;;#ASMEND
	ds_load_b128 v[76:79], v36 offset:48
	ds_load_b128 v[80:83], v11 offset:176
	;; [unrolled: 1-line block ×6, first 2 shown]
	s_wait_dscnt 0x4
	;;#ASMSTART
	v_dot2_f32_f16 v59, v76, v80, v59
	;;#ASMEND
	;;#ASMSTART
	v_dot2_f32_f16 v59, v77, v81, v59
	;;#ASMEND
	;;#ASMSTART
	v_dot2_f32_f16 v59, v78, v82, v59
	;;#ASMEND
	;;#ASMSTART
	v_dot2_f32_f16 v59, v79, v83, v59
	;;#ASMEND
	s_wait_dscnt 0x3
	;;#ASMSTART
	v_dot2_f32_f16 v60, v76, v84, v60
	;;#ASMEND
	;;#ASMSTART
	v_dot2_f32_f16 v60, v77, v85, v60
	;;#ASMEND
	;;#ASMSTART
	v_dot2_f32_f16 v60, v78, v86, v60
	;;#ASMEND
	;;#ASMSTART
	v_dot2_f32_f16 v60, v79, v87, v60
	;;#ASMEND
	;; [unrolled: 13-line block ×5, first 2 shown]
	;;#ASMSTART
	v_dot2_f32_f16 v64, v96, v84, v64
	;;#ASMEND
	;;#ASMSTART
	v_dot2_f32_f16 v64, v97, v85, v64
	;;#ASMEND
	;; [unrolled: 3-line block ×12, first 2 shown]
	ds_load_b128 v[76:79], v36 offset:64
	ds_load_b128 v[80:83], v11 offset:192
	;; [unrolled: 1-line block ×6, first 2 shown]
	s_wait_dscnt 0x4
	;;#ASMSTART
	v_dot2_f32_f16 v59, v76, v80, v59
	;;#ASMEND
	;;#ASMSTART
	v_dot2_f32_f16 v59, v77, v81, v59
	;;#ASMEND
	;;#ASMSTART
	v_dot2_f32_f16 v59, v78, v82, v59
	;;#ASMEND
	;;#ASMSTART
	v_dot2_f32_f16 v59, v79, v83, v59
	;;#ASMEND
	s_wait_dscnt 0x3
	;;#ASMSTART
	v_dot2_f32_f16 v60, v76, v84, v60
	;;#ASMEND
	;;#ASMSTART
	v_dot2_f32_f16 v60, v77, v85, v60
	;;#ASMEND
	;;#ASMSTART
	v_dot2_f32_f16 v60, v78, v86, v60
	;;#ASMEND
	;;#ASMSTART
	v_dot2_f32_f16 v60, v79, v87, v60
	;;#ASMEND
	;; [unrolled: 13-line block ×5, first 2 shown]
	;;#ASMSTART
	v_dot2_f32_f16 v64, v96, v84, v64
	;;#ASMEND
	;;#ASMSTART
	v_dot2_f32_f16 v64, v97, v85, v64
	;;#ASMEND
	;; [unrolled: 3-line block ×12, first 2 shown]
	ds_load_b128 v[76:79], v36 offset:80
	ds_load_b128 v[80:83], v11 offset:208
	;; [unrolled: 1-line block ×6, first 2 shown]
	s_wait_dscnt 0x4
	;;#ASMSTART
	v_dot2_f32_f16 v59, v76, v80, v59
	;;#ASMEND
	;;#ASMSTART
	v_dot2_f32_f16 v59, v77, v81, v59
	;;#ASMEND
	;;#ASMSTART
	v_dot2_f32_f16 v59, v78, v82, v59
	;;#ASMEND
	;;#ASMSTART
	v_dot2_f32_f16 v59, v79, v83, v59
	;;#ASMEND
	s_wait_dscnt 0x3
	;;#ASMSTART
	v_dot2_f32_f16 v60, v76, v84, v60
	;;#ASMEND
	;;#ASMSTART
	v_dot2_f32_f16 v60, v77, v85, v60
	;;#ASMEND
	;;#ASMSTART
	v_dot2_f32_f16 v60, v78, v86, v60
	;;#ASMEND
	;;#ASMSTART
	v_dot2_f32_f16 v60, v79, v87, v60
	;;#ASMEND
	;; [unrolled: 13-line block ×5, first 2 shown]
	;;#ASMSTART
	v_dot2_f32_f16 v64, v96, v84, v64
	;;#ASMEND
	;;#ASMSTART
	v_dot2_f32_f16 v64, v97, v85, v64
	;;#ASMEND
	;; [unrolled: 3-line block ×12, first 2 shown]
	ds_load_b128 v[76:79], v36 offset:96
	ds_load_b128 v[80:83], v11 offset:224
	;; [unrolled: 1-line block ×6, first 2 shown]
	s_wait_dscnt 0x4
	;;#ASMSTART
	v_dot2_f32_f16 v59, v76, v80, v59
	;;#ASMEND
	;;#ASMSTART
	v_dot2_f32_f16 v59, v77, v81, v59
	;;#ASMEND
	;;#ASMSTART
	v_dot2_f32_f16 v59, v78, v82, v59
	;;#ASMEND
	;;#ASMSTART
	v_dot2_f32_f16 v59, v79, v83, v59
	;;#ASMEND
	s_wait_dscnt 0x3
	;;#ASMSTART
	v_dot2_f32_f16 v60, v76, v84, v60
	;;#ASMEND
	;;#ASMSTART
	v_dot2_f32_f16 v60, v77, v85, v60
	;;#ASMEND
	;;#ASMSTART
	v_dot2_f32_f16 v60, v78, v86, v60
	;;#ASMEND
	;;#ASMSTART
	v_dot2_f32_f16 v60, v79, v87, v60
	;;#ASMEND
	;; [unrolled: 13-line block ×5, first 2 shown]
	;;#ASMSTART
	v_dot2_f32_f16 v64, v96, v84, v64
	;;#ASMEND
	;;#ASMSTART
	v_dot2_f32_f16 v64, v97, v85, v64
	;;#ASMEND
	;; [unrolled: 3-line block ×12, first 2 shown]
	ds_load_b128 v[76:79], v36 offset:112
	ds_load_b128 v[80:83], v11 offset:240
	;; [unrolled: 1-line block ×6, first 2 shown]
	s_wait_dscnt 0x4
	;;#ASMSTART
	v_dot2_f32_f16 v59, v76, v80, v59
	;;#ASMEND
	;;#ASMSTART
	v_dot2_f32_f16 v59, v77, v81, v59
	;;#ASMEND
	;;#ASMSTART
	v_dot2_f32_f16 v59, v78, v82, v59
	;;#ASMEND
	;;#ASMSTART
	v_dot2_f32_f16 v59, v79, v83, v59
	;;#ASMEND
	s_wait_dscnt 0x3
	;;#ASMSTART
	v_dot2_f32_f16 v60, v76, v84, v60
	;;#ASMEND
	;;#ASMSTART
	v_dot2_f32_f16 v60, v77, v85, v60
	;;#ASMEND
	;;#ASMSTART
	v_dot2_f32_f16 v60, v78, v86, v60
	;;#ASMEND
	;;#ASMSTART
	v_dot2_f32_f16 v60, v79, v87, v60
	;;#ASMEND
	;; [unrolled: 13-line block ×5, first 2 shown]
	;;#ASMSTART
	v_dot2_f32_f16 v64, v96, v84, v64
	;;#ASMEND
	;;#ASMSTART
	v_dot2_f32_f16 v64, v97, v85, v64
	;;#ASMEND
	;;#ASMSTART
	v_dot2_f32_f16 v64, v98, v86, v64
	;;#ASMEND
	;;#ASMSTART
	v_dot2_f32_f16 v64, v99, v87, v64
	;;#ASMEND
	;;#ASMSTART
	v_dot2_f32_f16 v65, v96, v88, v65
	;;#ASMEND
	;;#ASMSTART
	v_dot2_f32_f16 v65, v97, v89, v65
	;;#ASMEND
	;;#ASMSTART
	v_dot2_f32_f16 v65, v98, v90, v65
	;;#ASMEND
	;;#ASMSTART
	v_dot2_f32_f16 v65, v99, v91, v65
	;;#ASMEND
	;;#ASMSTART
	v_dot2_f32_f16 v66, v96, v92, v66
	;;#ASMEND
	;;#ASMSTART
	v_dot2_f32_f16 v66, v97, v93, v66
	;;#ASMEND
	;;#ASMSTART
	v_dot2_f32_f16 v66, v98, v94, v66
	;;#ASMEND
	;;#ASMSTART
	v_dot2_f32_f16 v66, v99, v95, v66
	;;#ASMEND
	s_wait_loadcnt 0x0
	s_barrier_signal -1
	s_barrier_wait -1
	global_inv scope:SCOPE_SE
	s_clause 0x1
	global_load_b128 v[76:79], v[22:23], off offset:256
	global_load_b128 v[22:25], v[24:25], off offset:256
	s_wait_loadcnt 0x1
	ds_store_b128 v34, v[76:79]
	s_wait_loadcnt 0x0
	ds_store_b128 v35, v[22:25]
	s_wait_dscnt 0x0
	s_barrier_signal -1
	s_barrier_wait -1
	global_inv scope:SCOPE_SE
	ds_load_b128 v[22:25], v36
	ds_load_b128 v[76:79], v11 offset:256
	ds_load_b128 v[80:83], v11 offset:640
	;; [unrolled: 1-line block ×5, first 2 shown]
	s_wait_dscnt 0x4
	;;#ASMSTART
	v_dot2_f32_f16 v59, v22, v76, v59
	;;#ASMEND
	;;#ASMSTART
	v_dot2_f32_f16 v59, v23, v77, v59
	;;#ASMEND
	;;#ASMSTART
	v_dot2_f32_f16 v59, v24, v78, v59
	;;#ASMEND
	;;#ASMSTART
	v_dot2_f32_f16 v59, v25, v79, v59
	;;#ASMEND
	s_wait_dscnt 0x3
	;;#ASMSTART
	v_dot2_f32_f16 v60, v22, v80, v60
	;;#ASMEND
	;;#ASMSTART
	v_dot2_f32_f16 v60, v23, v81, v60
	;;#ASMEND
	;;#ASMSTART
	v_dot2_f32_f16 v60, v24, v82, v60
	;;#ASMEND
	;;#ASMSTART
	v_dot2_f32_f16 v60, v25, v83, v60
	;;#ASMEND
	;; [unrolled: 13-line block ×5, first 2 shown]
	;;#ASMSTART
	v_dot2_f32_f16 v64, v92, v80, v64
	;;#ASMEND
	;;#ASMSTART
	v_dot2_f32_f16 v64, v93, v81, v64
	;;#ASMEND
	;; [unrolled: 3-line block ×12, first 2 shown]
	ds_load_b128 v[22:25], v36 offset:16
	ds_load_b128 v[76:79], v11 offset:272
	;; [unrolled: 1-line block ×6, first 2 shown]
	s_wait_dscnt 0x4
	;;#ASMSTART
	v_dot2_f32_f16 v59, v22, v76, v59
	;;#ASMEND
	;;#ASMSTART
	v_dot2_f32_f16 v59, v23, v77, v59
	;;#ASMEND
	;;#ASMSTART
	v_dot2_f32_f16 v59, v24, v78, v59
	;;#ASMEND
	;;#ASMSTART
	v_dot2_f32_f16 v59, v25, v79, v59
	;;#ASMEND
	s_wait_dscnt 0x3
	;;#ASMSTART
	v_dot2_f32_f16 v60, v22, v80, v60
	;;#ASMEND
	;;#ASMSTART
	v_dot2_f32_f16 v60, v23, v81, v60
	;;#ASMEND
	;;#ASMSTART
	v_dot2_f32_f16 v60, v24, v82, v60
	;;#ASMEND
	;;#ASMSTART
	v_dot2_f32_f16 v60, v25, v83, v60
	;;#ASMEND
	;; [unrolled: 13-line block ×5, first 2 shown]
	;;#ASMSTART
	v_dot2_f32_f16 v64, v92, v80, v64
	;;#ASMEND
	;;#ASMSTART
	v_dot2_f32_f16 v64, v93, v81, v64
	;;#ASMEND
	;; [unrolled: 3-line block ×12, first 2 shown]
	ds_load_b128 v[22:25], v36 offset:32
	ds_load_b128 v[76:79], v11 offset:288
	;; [unrolled: 1-line block ×6, first 2 shown]
	s_wait_dscnt 0x4
	;;#ASMSTART
	v_dot2_f32_f16 v59, v22, v76, v59
	;;#ASMEND
	;;#ASMSTART
	v_dot2_f32_f16 v59, v23, v77, v59
	;;#ASMEND
	;;#ASMSTART
	v_dot2_f32_f16 v59, v24, v78, v59
	;;#ASMEND
	;;#ASMSTART
	v_dot2_f32_f16 v59, v25, v79, v59
	;;#ASMEND
	s_wait_dscnt 0x3
	;;#ASMSTART
	v_dot2_f32_f16 v60, v22, v80, v60
	;;#ASMEND
	;;#ASMSTART
	v_dot2_f32_f16 v60, v23, v81, v60
	;;#ASMEND
	;;#ASMSTART
	v_dot2_f32_f16 v60, v24, v82, v60
	;;#ASMEND
	;;#ASMSTART
	v_dot2_f32_f16 v60, v25, v83, v60
	;;#ASMEND
	;; [unrolled: 13-line block ×5, first 2 shown]
	;;#ASMSTART
	v_dot2_f32_f16 v64, v92, v80, v64
	;;#ASMEND
	;;#ASMSTART
	v_dot2_f32_f16 v64, v93, v81, v64
	;;#ASMEND
	;; [unrolled: 3-line block ×12, first 2 shown]
	ds_load_b128 v[22:25], v36 offset:48
	ds_load_b128 v[76:79], v11 offset:304
	;; [unrolled: 1-line block ×6, first 2 shown]
	s_wait_dscnt 0x4
	;;#ASMSTART
	v_dot2_f32_f16 v59, v22, v76, v59
	;;#ASMEND
	;;#ASMSTART
	v_dot2_f32_f16 v59, v23, v77, v59
	;;#ASMEND
	;;#ASMSTART
	v_dot2_f32_f16 v59, v24, v78, v59
	;;#ASMEND
	;;#ASMSTART
	v_dot2_f32_f16 v59, v25, v79, v59
	;;#ASMEND
	s_wait_dscnt 0x3
	;;#ASMSTART
	v_dot2_f32_f16 v60, v22, v80, v60
	;;#ASMEND
	;;#ASMSTART
	v_dot2_f32_f16 v60, v23, v81, v60
	;;#ASMEND
	;;#ASMSTART
	v_dot2_f32_f16 v60, v24, v82, v60
	;;#ASMEND
	;;#ASMSTART
	v_dot2_f32_f16 v60, v25, v83, v60
	;;#ASMEND
	;; [unrolled: 13-line block ×5, first 2 shown]
	;;#ASMSTART
	v_dot2_f32_f16 v64, v92, v80, v64
	;;#ASMEND
	;;#ASMSTART
	v_dot2_f32_f16 v64, v93, v81, v64
	;;#ASMEND
	;; [unrolled: 3-line block ×12, first 2 shown]
	ds_load_b128 v[22:25], v36 offset:64
	ds_load_b128 v[76:79], v11 offset:320
	;; [unrolled: 1-line block ×6, first 2 shown]
	s_wait_dscnt 0x4
	;;#ASMSTART
	v_dot2_f32_f16 v59, v22, v76, v59
	;;#ASMEND
	;;#ASMSTART
	v_dot2_f32_f16 v59, v23, v77, v59
	;;#ASMEND
	;;#ASMSTART
	v_dot2_f32_f16 v59, v24, v78, v59
	;;#ASMEND
	;;#ASMSTART
	v_dot2_f32_f16 v59, v25, v79, v59
	;;#ASMEND
	s_wait_dscnt 0x3
	;;#ASMSTART
	v_dot2_f32_f16 v60, v22, v80, v60
	;;#ASMEND
	;;#ASMSTART
	v_dot2_f32_f16 v60, v23, v81, v60
	;;#ASMEND
	;;#ASMSTART
	v_dot2_f32_f16 v60, v24, v82, v60
	;;#ASMEND
	;;#ASMSTART
	v_dot2_f32_f16 v60, v25, v83, v60
	;;#ASMEND
	;; [unrolled: 13-line block ×5, first 2 shown]
	;;#ASMSTART
	v_dot2_f32_f16 v64, v92, v80, v64
	;;#ASMEND
	;;#ASMSTART
	v_dot2_f32_f16 v64, v93, v81, v64
	;;#ASMEND
	;; [unrolled: 3-line block ×12, first 2 shown]
	ds_load_b128 v[22:25], v36 offset:80
	ds_load_b128 v[76:79], v11 offset:336
	ds_load_b128 v[80:83], v11 offset:720
	ds_load_b128 v[84:87], v11 offset:1104
	ds_load_b128 v[88:91], v11 offset:1488
	ds_load_b128 v[92:95], v36 offset:4688
	s_wait_dscnt 0x4
	;;#ASMSTART
	v_dot2_f32_f16 v59, v22, v76, v59
	;;#ASMEND
	;;#ASMSTART
	v_dot2_f32_f16 v59, v23, v77, v59
	;;#ASMEND
	;;#ASMSTART
	v_dot2_f32_f16 v59, v24, v78, v59
	;;#ASMEND
	;;#ASMSTART
	v_dot2_f32_f16 v59, v25, v79, v59
	;;#ASMEND
	s_wait_dscnt 0x3
	;;#ASMSTART
	v_dot2_f32_f16 v60, v22, v80, v60
	;;#ASMEND
	;;#ASMSTART
	v_dot2_f32_f16 v60, v23, v81, v60
	;;#ASMEND
	;;#ASMSTART
	v_dot2_f32_f16 v60, v24, v82, v60
	;;#ASMEND
	;;#ASMSTART
	v_dot2_f32_f16 v60, v25, v83, v60
	;;#ASMEND
	;; [unrolled: 13-line block ×5, first 2 shown]
	;;#ASMSTART
	v_dot2_f32_f16 v64, v92, v80, v64
	;;#ASMEND
	;;#ASMSTART
	v_dot2_f32_f16 v64, v93, v81, v64
	;;#ASMEND
	;; [unrolled: 3-line block ×12, first 2 shown]
	ds_load_b128 v[22:25], v36 offset:96
	ds_load_b128 v[76:79], v11 offset:352
	;; [unrolled: 1-line block ×6, first 2 shown]
	s_wait_dscnt 0x4
	;;#ASMSTART
	v_dot2_f32_f16 v59, v22, v76, v59
	;;#ASMEND
	;;#ASMSTART
	v_dot2_f32_f16 v59, v23, v77, v59
	;;#ASMEND
	;;#ASMSTART
	v_dot2_f32_f16 v59, v24, v78, v59
	;;#ASMEND
	;;#ASMSTART
	v_dot2_f32_f16 v59, v25, v79, v59
	;;#ASMEND
	s_wait_dscnt 0x3
	;;#ASMSTART
	v_dot2_f32_f16 v60, v22, v80, v60
	;;#ASMEND
	;;#ASMSTART
	v_dot2_f32_f16 v60, v23, v81, v60
	;;#ASMEND
	;;#ASMSTART
	v_dot2_f32_f16 v60, v24, v82, v60
	;;#ASMEND
	;;#ASMSTART
	v_dot2_f32_f16 v60, v25, v83, v60
	;;#ASMEND
	;; [unrolled: 13-line block ×5, first 2 shown]
	;;#ASMSTART
	v_dot2_f32_f16 v64, v92, v80, v64
	;;#ASMEND
	;;#ASMSTART
	v_dot2_f32_f16 v64, v93, v81, v64
	;;#ASMEND
	;; [unrolled: 3-line block ×12, first 2 shown]
	ds_load_b128 v[22:25], v36 offset:112
	ds_load_b128 v[76:79], v11 offset:368
	;; [unrolled: 1-line block ×6, first 2 shown]
	s_wait_dscnt 0x4
	;;#ASMSTART
	v_dot2_f32_f16 v59, v22, v76, v59
	;;#ASMEND
	;;#ASMSTART
	v_dot2_f32_f16 v59, v23, v77, v59
	;;#ASMEND
	;;#ASMSTART
	v_dot2_f32_f16 v59, v24, v78, v59
	;;#ASMEND
	;;#ASMSTART
	v_dot2_f32_f16 v59, v25, v79, v59
	;;#ASMEND
	s_wait_dscnt 0x3
	;;#ASMSTART
	v_dot2_f32_f16 v60, v22, v80, v60
	;;#ASMEND
	;;#ASMSTART
	v_dot2_f32_f16 v60, v23, v81, v60
	;;#ASMEND
	;;#ASMSTART
	v_dot2_f32_f16 v60, v24, v82, v60
	;;#ASMEND
	;;#ASMSTART
	v_dot2_f32_f16 v60, v25, v83, v60
	;;#ASMEND
	;; [unrolled: 13-line block ×5, first 2 shown]
	;;#ASMSTART
	v_dot2_f32_f16 v64, v92, v80, v64
	;;#ASMEND
	;;#ASMSTART
	v_dot2_f32_f16 v64, v93, v81, v64
	;;#ASMEND
	;; [unrolled: 3-line block ×12, first 2 shown]
	s_clause 0x1
	global_load_u16 v22, v[20:21], off
	global_load_u16 v20, v[20:21], off offset:64
	s_wait_loadcnt 0x0
	s_barrier_signal -1
	s_barrier_wait -1
	global_inv scope:SCOPE_SE
	s_clause 0x1
	global_load_b128 v[76:79], v[0:1], off
	global_load_b128 v[80:83], v[2:3], off
	v_cvt_f32_f16_e32 v0, v22
	v_cvt_f32_f16_e32 v1, v20
	s_delay_alu instid0(VALU_DEP_2) | instskip(NEXT) | instid1(VALU_DEP_2)
	v_add_f32_e32 v20, v59, v0
	v_dual_add_f32 v21, v63, v1 :: v_dual_add_f32 v22, v60, v0
	v_add_f32_e32 v25, v65, v1
	v_dual_add_f32 v23, v64, v1 :: v_dual_add_f32 v24, v61, v0
	v_add_f32_e32 v59, v62, v0
	v_add_f32_e32 v60, v66, v1
	v_dual_add_f32 v0, 0x40051340, v20 :: v_dual_add_f32 v1, 0x40051340, v21
	s_delay_alu instid0(VALU_DEP_4) | instskip(SKIP_2) | instid1(VALU_DEP_4)
	v_dual_add_f32 v2, 0x40051340, v22 :: v_dual_add_f32 v61, 0x40051340, v24
	v_dual_add_f32 v3, 0x40051340, v23 :: v_dual_add_f32 v62, 0x40051340, v25
	v_add_f32_e32 v63, 0x40051340, v59
	v_max3_num_f32 v0, v58, v0, v1
	s_delay_alu instid0(VALU_DEP_3) | instskip(NEXT) | instid1(VALU_DEP_4)
	v_max3_num_f32 v1, v57, v2, v3
	v_max3_num_f32 v2, v56, v61, v62
	ds_bpermute_b32 v61, v75, v0
	v_add_f32_e32 v64, 0x40051340, v60
	ds_bpermute_b32 v62, v75, v1
	s_wait_dscnt 0x1
	v_max_num_f32_e32 v61, v61, v61
	v_max3_num_f32 v3, v55, v63, v64
	ds_bpermute_b32 v63, v75, v2
	s_wait_dscnt 0x1
	v_max_num_f32_e32 v62, v62, v62
	ds_bpermute_b32 v64, v75, v3
	s_wait_dscnt 0x1
	v_max_num_f32_e32 v63, v63, v63
	s_wait_dscnt 0x0
	v_dual_max_num_f32 v1, v1, v62 :: v_dual_max_num_f32 v64, v64, v64
	v_max_num_f32_e32 v0, v0, v61
	ds_bpermute_b32 v62, v74, v1
	v_max_num_f32_e32 v3, v3, v64
	ds_bpermute_b32 v61, v74, v0
	;; [unrolled: 2-line block ×3, first 2 shown]
	s_wait_dscnt 0x1
	v_max_num_f32_e32 v61, v61, v61
	ds_bpermute_b32 v63, v74, v2
	s_wait_dscnt 0x0
	v_dual_max_num_f32 v62, v62, v62 :: v_dual_max_num_f32 v63, v63, v63
	s_delay_alu instid0(VALU_DEP_1) | instskip(NEXT) | instid1(VALU_DEP_1)
	v_dual_max_num_f32 v64, v64, v64 :: v_dual_max_num_f32 v1, v1, v62
	v_dual_max_num_f32 v0, v0, v61 :: v_dual_max_num_f32 v3, v3, v64
	ds_bpermute_b32 v62, v73, v1
	ds_bpermute_b32 v61, v73, v0
	v_max_num_f32_e32 v2, v2, v63
	ds_bpermute_b32 v64, v73, v3
	s_wait_dscnt 0x1
	v_max_num_f32_e32 v61, v61, v61
	ds_bpermute_b32 v63, v73, v2
	s_wait_dscnt 0x0
	v_dual_max_num_f32 v62, v62, v62 :: v_dual_max_num_f32 v63, v63, v63
	s_delay_alu instid0(VALU_DEP_1) | instskip(NEXT) | instid1(VALU_DEP_1)
	v_dual_max_num_f32 v64, v64, v64 :: v_dual_max_num_f32 v1, v1, v62
	v_dual_max_num_f32 v0, v0, v61 :: v_dual_max_num_f32 v3, v3, v64
	ds_bpermute_b32 v62, v72, v1
	ds_bpermute_b32 v61, v72, v0
	v_max_num_f32_e32 v2, v2, v63
	ds_bpermute_b32 v64, v72, v3
	s_wait_dscnt 0x1
	v_max_num_f32_e32 v61, v61, v61
	ds_bpermute_b32 v63, v72, v2
	s_wait_dscnt 0x0
	v_dual_max_num_f32 v62, v62, v62 :: v_dual_max_num_f32 v63, v63, v63
	s_delay_alu instid0(VALU_DEP_1) | instskip(NEXT) | instid1(VALU_DEP_1)
	v_dual_max_num_f32 v64, v64, v64 :: v_dual_max_num_f32 v1, v1, v62
	v_dual_max_num_f32 v0, v0, v61 :: v_dual_max_num_f32 v3, v3, v64
	ds_bpermute_b32 v62, v71, v1
	ds_bpermute_b32 v61, v71, v0
	v_max_num_f32_e32 v2, v2, v63
	ds_bpermute_b32 v64, v71, v3
	s_wait_dscnt 0x1
	v_max_num_f32_e32 v61, v61, v61
	ds_bpermute_b32 v63, v71, v2
	s_wait_dscnt 0x0
	v_dual_max_num_f32 v62, v62, v62 :: v_dual_max_num_f32 v63, v63, v63
	s_delay_alu instid0(VALU_DEP_1) | instskip(NEXT) | instid1(VALU_DEP_1)
	v_dual_max_num_f32 v64, v64, v64 :: v_dual_max_num_f32 v1, v1, v62
	v_dual_max_num_f32 v0, v0, v61 :: v_dual_max_num_f32 v3, v3, v64
	s_delay_alu instid0(VALU_DEP_1) | instskip(NEXT) | instid1(VALU_DEP_3)
	v_dual_max_num_f32 v2, v2, v63 :: v_dual_sub_f32 v21, v21, v0
	v_dual_sub_f32 v58, v58, v0 :: v_dual_sub_f32 v57, v57, v1
	v_dual_sub_f32 v20, v20, v0 :: v_dual_sub_f32 v23, v23, v1
	s_delay_alu instid0(VALU_DEP_3) | instskip(SKIP_2) | instid1(VALU_DEP_4)
	v_dual_sub_f32 v22, v22, v1 :: v_dual_sub_f32 v25, v25, v2
	v_dual_sub_f32 v56, v56, v2 :: v_dual_sub_f32 v55, v55, v3
	;; [unrolled: 1-line block ×3, first 2 shown]
	v_dual_sub_f32 v60, v60, v3 :: v_dual_mul_f32 v61, 0x3fb8aa3b, v20
	v_dual_mul_f32 v62, 0x3fb8aa3b, v21 :: v_dual_mul_f32 v63, 0x3fb8aa3b, v58
	v_dual_mul_f32 v64, 0x3fb8aa3b, v22 :: v_dual_mul_f32 v65, 0x3fb8aa3b, v23
	s_delay_alu instid0(VALU_DEP_4)
	v_dual_mul_f32 v66, 0x3fb8aa3b, v57 :: v_dual_mul_f32 v71, 0x3fb8aa3b, v24
	v_dual_mul_f32 v72, 0x3fb8aa3b, v25 :: v_dual_mul_f32 v73, 0x3fb8aa3b, v56
	v_fma_f32 v85, 0x3fb8aa3b, v20, -v61
	v_rndne_f32_e32 v86, v61
	v_fma_f32 v89, 0x3fb8aa3b, v58, -v63
	v_fma_f32 v91, 0x3fb8aa3b, v22, -v64
	v_rndne_f32_e32 v92, v64
	v_dual_mul_f32 v74, 0x3fb8aa3b, v59 :: v_dual_mul_f32 v75, 0x3fb8aa3b, v60
	v_cmp_ngt_f32_e64 s3, 0xc2ce8ed0, v22
	v_cmp_ngt_f32_e64 s12, 0xc2ce8ed0, v20
	v_cmp_nlt_f32_e64 s15, 0x42b17218, v22
	v_cmp_nlt_f32_e64 s24, 0x42b17218, v20
	v_fma_f32 v87, 0x3fb8aa3b, v21, -v62
	v_rndne_f32_e32 v90, v63
	v_fma_f32 v93, 0x3fb8aa3b, v23, -v65
	v_rndne_f32_e32 v94, v65
	v_fma_f32 v95, 0x3fb8aa3b, v57, -v66
	v_fma_f32 v97, 0x3fb8aa3b, v24, -v71
	v_rndne_f32_e32 v98, v71
	v_fma_f32 v101, 0x3fb8aa3b, v56, -v73
	v_rndne_f32_e32 v102, v73
	v_dual_fmac_f32 v85, 0x32a5705f, v20 :: v_dual_sub_f32 v20, v61, v86
	v_fmac_f32_e32 v89, 0x32a5705f, v58
	v_dual_fmac_f32 v91, 0x32a5705f, v22 :: v_dual_sub_f32 v22, v64, v92
	v_cmp_ngt_f32_e64 s2, 0xc2ce8ed0, v58
	v_cmp_ngt_f32_e64 s4, 0xc2ce8ed0, v23
	;; [unrolled: 1-line block ×4, first 2 shown]
	v_cmp_nlt_f32_e64 s14, 0x42b17218, v58
	v_cmp_nlt_f32_e64 s16, 0x42b17218, v23
	;; [unrolled: 1-line block ×4, first 2 shown]
	v_fma_f32 v103, 0x3fb8aa3b, v59, -v74
	v_dual_fmac_f32 v87, 0x32a5705f, v21 :: v_dual_sub_f32 v58, v63, v90
	v_fmac_f32_e32 v93, 0x32a5705f, v23
	v_sub_f32_e32 v23, v65, v94
	v_fmac_f32_e32 v95, 0x32a5705f, v57
	v_dual_add_f32 v20, v20, v85 :: v_dual_fmac_f32 v97, 0x32a5705f, v24
	v_add_f32_e32 v22, v22, v91
	v_dual_sub_f32 v24, v71, v98 :: v_dual_fmac_f32 v101, 0x32a5705f, v56
	v_sub_f32_e32 v56, v73, v102
	v_rndne_f32_e32 v88, v62
	v_add_f32_e32 v58, v58, v89
	v_add_f32_e32 v23, v23, v93
	v_dual_add_f32 v24, v24, v97 :: v_dual_fmac_f32 v103, 0x32a5705f, v59
	v_add_f32_e32 v56, v56, v101
	v_mul_f32_e32 v84, 0x3fb8aa3b, v55
	v_cmp_ngt_f32_e32 vcc_lo, 0xc2ce8ed0, v21
	v_cmp_nlt_f32_e64 s13, 0x42b17218, v21
	v_sub_f32_e32 v21, v62, v88
	v_exp_f32_e32 v22, v22
	v_exp_f32_e32 v23, v23
	;; [unrolled: 1-line block ×3, first 2 shown]
	v_cvt_i32_f32_e32 v64, v92
	v_cvt_i32_f32_e32 v65, v94
	;; [unrolled: 1-line block ×3, first 2 shown]
	v_add_f32_e32 v21, v21, v87
	v_exp_f32_e32 v20, v20
	v_fma_f32 v99, 0x3fb8aa3b, v25, -v72
	v_rndne_f32_e32 v100, v72
	v_ldexp_f32 v22, v22, v64
	v_exp_f32_e32 v21, v21
	v_ldexp_f32 v23, v23, v65
	v_ldexp_f32 v56, v56, v73
	v_cvt_i32_f32_e32 v61, v86
	v_cvt_i32_f32_e32 v62, v88
	s_wait_alu 0xf1ff
	v_cndmask_b32_e64 v22, 0, v22, s3
	v_cndmask_b32_e64 v23, 0, v23, s4
	;; [unrolled: 1-line block ×3, first 2 shown]
	v_cmp_ngt_f32_e64 s7, 0xc2ce8ed0, v25
	v_cmp_nlt_f32_e64 s19, 0x42b17218, v25
	v_ldexp_f32 v20, v20, v61
	v_ldexp_f32 v21, v21, v62
	v_cndmask_b32_e64 v22, 0x7f800000, v22, s15
	v_cndmask_b32_e64 v61, 0x7f800000, v23, s16
	;; [unrolled: 1-line block ×3, first 2 shown]
	v_fmac_f32_e32 v99, 0x32a5705f, v25
	v_sub_f32_e32 v25, v72, v100
	v_cvt_f16_f32_e32 v56, v22
	v_add_f32_e32 v22, v22, v61
	v_exp_f32_e32 v24, v24
	v_cvt_i32_f32_e32 v71, v98
	v_add_f32_e32 v25, v25, v99
	v_cvt_i32_f32_e32 v72, v100
	v_rndne_f32_e32 v96, v66
	v_cmp_ngt_f32_e64 s5, 0xc2ce8ed0, v57
	v_cmp_nlt_f32_e64 s17, 0x42b17218, v57
	v_exp_f32_e32 v25, v25
	v_fma_f32 v105, 0x3fb8aa3b, v60, -v75
	v_rndne_f32_e32 v106, v75
	v_ldexp_f32 v24, v24, v71
	v_sub_f32_e32 v57, v66, v96
	v_cmp_ngt_f32_e64 s10, 0xc2ce8ed0, v60
	v_cmp_nlt_f32_e64 s22, 0x42b17218, v60
	v_exp_f32_e32 v58, v58
	v_cndmask_b32_e64 v24, 0, v24, s6
	v_cvt_i32_f32_e32 v63, v90
	v_ldexp_f32 v25, v25, v72
	v_cvt_i32_f32_e32 v66, v96
	v_fma_f32 v107, 0x3fb8aa3b, v55, -v84
	v_cndmask_b32_e64 v24, 0x7f800000, v24, s18
	v_rndne_f32_e32 v108, v84
	s_wait_alu 0xf1ff
	v_cndmask_b32_e64 v25, 0, v25, s7
	v_cmp_ngt_f32_e64 s11, 0xc2ce8ed0, v55
	v_ldexp_f32 v58, v58, v63
	v_cmp_nlt_f32_e64 s23, 0x42b17218, v55
	v_rndne_f32_e32 v104, v74
	v_cndmask_b32_e64 v25, 0x7f800000, v25, s19
	v_dual_fmac_f32 v105, 0x32a5705f, v60 :: v_dual_sub_f32 v60, v75, v106
	v_add_f32_e32 v57, v57, v95
	v_cndmask_b32_e64 v58, 0, v58, s2
	v_cndmask_b32_e64 v20, 0, v20, s12
	s_wait_alu 0xfffd
	v_cndmask_b32_e32 v21, 0, v21, vcc_lo
	v_cmp_ngt_f32_e64 s9, 0xc2ce8ed0, v59
	v_exp_f32_e32 v57, v57
	v_cndmask_b32_e64 v58, 0x7f800000, v58, s14
	v_cmp_nlt_f32_e64 s21, 0x42b17218, v59
	v_sub_f32_e32 v59, v74, v104
	v_cndmask_b32_e64 v20, 0x7f800000, v20, s24
	v_cndmask_b32_e64 v21, 0x7f800000, v21, s13
	v_cvt_f16_f32_e32 v73, v58
	v_cvt_i32_f32_e32 v74, v104
	v_cvt_i32_f32_e32 v75, v106
	v_cvt_f16_f32_e32 v64, v24
	v_ldexp_f32 v57, v57, v66
	v_and_b32_e32 v100, 0xffff, v73
	v_add_f32_e32 v23, v20, v21
	v_cvt_f16_f32_e32 v63, v21
	v_cvt_f16_f32_e32 v66, v25
	v_cndmask_b32_e64 v57, 0, v57, s5
	v_cvt_f16_f32_e32 v72, v61
	v_fmac_f32_e32 v23, v68, v58
	s_delay_alu instid0(VALU_DEP_3) | instskip(SKIP_3) | instid1(VALU_DEP_2)
	v_cndmask_b32_e64 v57, 0x7f800000, v57, s17
	v_fmac_f32_e32 v107, 0x32a5705f, v55
	v_sub_f32_e32 v55, v84, v108
	v_cvt_i32_f32_e32 v84, v108
	v_dual_fmac_f32 v22, v69, v57 :: v_dual_add_f32 v55, v55, v107
	s_delay_alu instid0(VALU_DEP_1) | instskip(NEXT) | instid1(TRANS32_DEP_1)
	v_exp_f32_e32 v55, v55
	v_ldexp_f32 v55, v55, v84
	v_cvt_f16_f32_e32 v84, v62
	s_wait_alu 0xf1ff
	s_delay_alu instid0(VALU_DEP_2) | instskip(NEXT) | instid1(VALU_DEP_1)
	v_cndmask_b32_e64 v55, 0, v55, s11
	v_cndmask_b32_e64 v104, 0x7f800000, v55, s23
	v_cvt_f16_f32_e32 v55, v20
	v_add_f32_e32 v20, v24, v25
	v_dual_add_f32 v60, v60, v105 :: v_dual_add_f32 v59, v59, v103
	v_and_b32_e32 v103, 0xffff, v84
	s_delay_alu instid0(VALU_DEP_4) | instskip(SKIP_1) | instid1(VALU_DEP_4)
	v_pack_b32_f16 v24, v55, v56
	v_pack_b32_f16 v55, v63, v72
	v_exp_f32_e32 v60, v60
	v_exp_f32_e32 v59, v59
	v_fmac_f32_e32 v20, v70, v62
	v_mul_u32_u24_e32 v106, 0x10001, v103
	s_delay_alu instid0(VALU_DEP_1) | instskip(NEXT) | instid1(TRANS32_DEP_2)
	v_pk_mul_f16 v50, v50, v106
	v_ldexp_f32 v60, v60, v75
	s_delay_alu instid0(TRANS32_DEP_1) | instskip(SKIP_2) | instid1(VALU_DEP_4)
	v_ldexp_f32 v59, v59, v74
	v_cvt_f16_f32_e32 v74, v104
	v_cvt_f16_f32_e32 v75, v57
	v_cndmask_b32_e64 v60, 0, v60, s10
	s_delay_alu instid0(VALU_DEP_4) | instskip(NEXT) | instid1(VALU_DEP_4)
	v_cndmask_b32_e64 v59, 0, v59, s9
	v_and_b32_e32 v101, 0xffff, v74
	s_delay_alu instid0(VALU_DEP_4) | instskip(NEXT) | instid1(VALU_DEP_4)
	v_and_b32_e32 v102, 0xffff, v75
	v_cndmask_b32_e64 v60, 0x7f800000, v60, s22
	s_delay_alu instid0(VALU_DEP_4) | instskip(NEXT) | instid1(VALU_DEP_3)
	v_cndmask_b32_e64 v59, 0x7f800000, v59, s21
	v_mul_u32_u24_e32 v105, 0x10001, v102
	s_delay_alu instid0(VALU_DEP_3) | instskip(NEXT) | instid1(VALU_DEP_3)
	v_cvt_f16_f32_e32 v71, v60
	v_cvt_f16_f32_e32 v65, v59
	v_add_f32_e32 v21, v59, v60
	s_delay_alu instid0(VALU_DEP_3) | instskip(NEXT) | instid1(VALU_DEP_3)
	v_pack_b32_f16 v56, v66, v71
	v_pack_b32_f16 v25, v64, v65
	ds_store_2addr_b64 v41, v[24:25], v[55:56] offset1:32
	s_wait_loadcnt 0x1
	ds_store_b128 v38, v[76:79]
	s_wait_loadcnt 0x0
	ds_store_b128 v39, v[80:83]
	s_wait_dscnt 0x0
	s_barrier_signal -1
	s_barrier_wait -1
	global_inv scope:SCOPE_SE
	ds_load_b128 v[55:58], v37
	ds_load_b128 v[59:62], v37 offset:16
	ds_load_b128 v[63:66], v37 offset:32
	;; [unrolled: 1-line block ×9, first 2 shown]
	ds_load_2addr_b64 v[96:99], v43 offset1:32
	v_mul_u32_u24_e32 v25, 0x10001, v101
	v_mul_u32_u24_e32 v24, 0x10001, v100
	ds_load_2addr_b64 v[100:103], v43 offset0:64 offset1:96
	v_pk_mul_f16 v49, v49, v25
	v_pk_mul_f16 v25, v47, v25
	;; [unrolled: 1-line block ×3, first 2 shown]
	s_wait_dscnt 0xb
	v_lshrrev_b32_e32 v109, 16, v58
	s_wait_dscnt 0xa
	v_lshrrev_b32_e32 v113, 16, v60
	s_wait_dscnt 0x9
	v_dual_fmac_f32 v21, v67, v104 :: v_dual_and_b32 v122, 0xffff, v63
	s_wait_dscnt 0x7
	v_and_b32_e32 v142, 0xffff, v74
	v_lshrrev_b32_e32 v67, 16, v56
	v_and_b32_e32 v104, 0xffff, v55
	v_and_b32_e32 v115, 0xffff, v60
	v_lshrrev_b32_e32 v47, 16, v55
	v_and_b32_e32 v107, 0xffff, v56
	v_mul_u32_u24_e32 v60, 0x10001, v67
	v_and_b32_e32 v110, 0xffff, v57
	v_lshrrev_b32_e32 v112, 16, v59
	v_and_b32_e32 v114, 0xffff, v59
	v_lshrrev_b32_e32 v120, 16, v63
	v_pk_mul_f16 v59, v52, v105
	v_mul_u32_u24_e32 v52, 0x10001, v104
	s_wait_dscnt 0x1
	v_pk_fma_f16 v49, v96, v60, v49
	v_pk_fma_f16 v25, v97, v60, v25
	v_mul_u32_u24_e32 v63, 0x10001, v109
	v_lshrrev_b32_e32 v108, 16, v57
	v_lshrrev_b32_e32 v116, 16, v61
	;; [unrolled: 1-line block ×3, first 2 shown]
	v_and_b32_e32 v118, 0xffff, v61
	v_and_b32_e32 v119, 0xffff, v62
	v_lshrrev_b32_e32 v124, 16, v65
	v_and_b32_e32 v126, 0xffff, v65
	v_mul_u32_u24_e32 v47, 0x10001, v47
	v_pk_fma_f16 v61, v97, v52, v54
	v_pk_mul_f16 v52, v96, v52
	v_mul_u32_u24_e32 v62, 0x10001, v107
	v_pk_fma_f16 v65, v98, v63, v49
	v_pk_fma_f16 v25, v99, v63, v25
	v_mul_u32_u24_e32 v63, 0x10001, v110
	v_and_b32_e32 v111, 0xffff, v58
	v_lshrrev_b32_e32 v125, 16, v66
	v_and_b32_e32 v127, 0xffff, v66
	v_pk_mul_f16 v54, v96, v47
	v_pk_fma_f16 v24, v53, v24, v52
	v_pk_fma_f16 v59, v97, v47, v59
	v_pk_mul_f16 v47, v96, v62
	v_pk_fma_f16 v66, v99, v63, v61
	v_mul_u32_u24_e32 v61, 0x10001, v108
	v_lshrrev_b32_e32 v121, 16, v64
	v_and_b32_e32 v123, 0xffff, v64
	v_pk_fma_f16 v62, v97, v62, v50
	v_pk_fma_f16 v64, v48, v106, v47
	;; [unrolled: 1-line block ×4, first 2 shown]
	v_mul_u32_u24_e32 v59, 0x10001, v111
	v_lshrrev_b32_e32 v128, 16, v68
	v_lshrrev_b32_e32 v129, 16, v69
	v_and_b32_e32 v130, 0xffff, v68
	v_and_b32_e32 v131, 0xffff, v69
	v_lshrrev_b32_e32 v133, 16, v71
	v_and_b32_e32 v135, 0xffff, v71
	v_pk_fma_f16 v60, v51, v105, v54
	v_pk_fma_f16 v68, v99, v59, v62
	;; [unrolled: 1-line block ×3, first 2 shown]
	v_mul_u32_u24_e32 v59, 0x10001, v113
	v_mul_u32_u24_e32 v69, 0x10001, v114
	;; [unrolled: 1-line block ×3, first 2 shown]
	v_lshrrev_b32_e32 v132, 16, v70
	v_and_b32_e32 v134, 0xffff, v70
	v_lshrrev_b32_e32 v136, 16, v72
	v_lshrrev_b32_e32 v137, 16, v73
	v_and_b32_e32 v138, 0xffff, v72
	v_and_b32_e32 v139, 0xffff, v73
	ds_load_2addr_b64 v[47:50], v43 offset0:128 offset1:160
	v_pk_fma_f16 v67, v98, v61, v60
	s_wait_dscnt 0x1
	v_pk_fma_f16 v65, v100, v59, v65
	v_pk_fma_f16 v25, v101, v59, v25
	v_mul_u32_u24_e32 v70, 0x10001, v112
	v_mul_u32_u24_e32 v72, 0x10001, v117
	v_pk_fma_f16 v73, v101, v69, v66
	v_pk_fma_f16 v68, v101, v71, v68
	;; [unrolled: 1-line block ×4, first 2 shown]
	v_mul_u32_u24_e32 v71, 0x10001, v118
	v_lshrrev_b32_e32 v140, 16, v74
	v_pk_fma_f16 v74, v101, v70, v63
	v_pk_fma_f16 v67, v100, v70, v67
	;; [unrolled: 1-line block ×6, first 2 shown]
	v_mul_u32_u24_e32 v71, 0x10001, v116
	v_lshrrev_b32_e32 v141, 16, v75
	v_and_b32_e32 v143, 0xffff, v75
	v_lshrrev_b32_e32 v144, 16, v76
	v_lshrrev_b32_e32 v145, 16, v77
	v_pk_fma_f16 v73, v103, v71, v74
	v_pk_fma_f16 v71, v102, v71, v67
	v_mul_u32_u24_e32 v67, 0x10001, v119
	v_and_b32_e32 v146, 0xffff, v76
	v_and_b32_e32 v147, 0xffff, v77
	v_lshrrev_b32_e32 v148, 16, v78
	v_and_b32_e32 v150, 0xffff, v78
	v_pk_fma_f16 v74, v103, v67, v68
	v_pk_fma_f16 v75, v102, v67, v69
	v_mul_u32_u24_e32 v67, 0x10001, v121
	v_mul_u32_u24_e32 v77, 0x10001, v122
	;; [unrolled: 1-line block ×5, first 2 shown]
	s_wait_dscnt 0x0
	v_pk_fma_f16 v76, v47, v67, v70
	ds_load_2addr_b64 v[59:62], v43 offset0:192 offset1:224
	v_pk_fma_f16 v106, v48, v77, v72
	v_pk_fma_f16 v24, v47, v77, v24
	;; [unrolled: 1-line block ×5, first 2 shown]
	v_mul_u32_u24_e32 v76, 0x10001, v126
	v_pk_fma_f16 v25, v48, v67, v25
	v_pk_fma_f16 v107, v48, v78, v73
	ds_load_b128 v[55:58], v37 offset:160
	ds_load_b128 v[51:54], v37 offset:176
	v_pk_fma_f16 v78, v50, v76, v106
	v_pk_fma_f16 v24, v49, v76, v24
	v_mul_u32_u24_e32 v76, 0x10001, v124
	v_pk_fma_f16 v48, v48, v104, v74
	v_pk_fma_f16 v25, v50, v105, v25
	ds_load_2addr_b64 v[71:74], v44 offset1:32
	v_mul_u32_u24_e32 v110, 0x10001, v130
	v_pk_fma_f16 v105, v50, v76, v107
	v_pk_fma_f16 v76, v49, v76, v77
	v_mul_u32_u24_e32 v77, 0x10001, v127
	v_mul_u32_u24_e32 v111, 0x10001, v128
	;; [unrolled: 1-line block ×3, first 2 shown]
	s_wait_dscnt 0x3
	v_pk_fma_f16 v114, v60, v110, v78
	v_mul_u32_u24_e32 v113, 0x10001, v133
	v_pk_fma_f16 v107, v50, v77, v48
	v_pk_fma_f16 v77, v49, v77, v47
	v_mul_u32_u24_e32 v47, 0x10001, v129
	v_pk_fma_f16 v105, v60, v111, v105
	v_pk_fma_f16 v24, v59, v110, v24
	v_mul_u32_u24_e32 v120, 0x10001, v139
	ds_load_b128 v[63:66], v37 offset:192
	ds_load_b128 v[67:70], v37 offset:208
	v_pk_fma_f16 v25, v60, v47, v25
	v_pk_fma_f16 v60, v60, v112, v107
	;; [unrolled: 1-line block ×3, first 2 shown]
	v_mul_u32_u24_e32 v111, 0x10001, v134
	v_pk_fma_f16 v75, v59, v47, v75
	v_pk_fma_f16 v59, v59, v112, v77
	ds_load_2addr_b64 v[47:50], v44 offset0:64 offset1:96
	v_pk_fma_f16 v25, v62, v113, v25
	v_pk_fma_f16 v112, v62, v111, v114
	v_mul_u32_u24_e32 v114, 0x10001, v135
	v_pk_fma_f16 v110, v61, v113, v75
	v_pk_fma_f16 v24, v61, v111, v24
	s_wait_dscnt 0x5
	v_lshrrev_b32_e32 v111, 16, v55
	v_mul_u32_u24_e32 v113, 0x10001, v132
	v_pk_fma_f16 v60, v62, v114, v60
	v_pk_fma_f16 v59, v61, v114, v59
	v_and_b32_e32 v114, 0xffff, v55
	v_mul_u32_u24_e32 v55, 0x10001, v137
	v_pk_fma_f16 v105, v62, v113, v105
	v_pk_fma_f16 v107, v61, v113, v107
	v_mul_u32_u24_e32 v62, 0x10001, v138
	v_mul_u32_u24_e32 v121, 0x10001, v141
	s_wait_dscnt 0x3
	v_pk_fma_f16 v61, v71, v55, v110
	v_mul_u32_u24_e32 v110, 0x10001, v136
	v_pk_fma_f16 v25, v72, v55, v25
	v_pk_fma_f16 v112, v72, v62, v112
	;; [unrolled: 1-line block ×3, first 2 shown]
	v_mul_u32_u24_e32 v122, 0x10001, v143
	v_pk_fma_f16 v105, v72, v110, v105
	v_pk_fma_f16 v72, v72, v120, v60
	;; [unrolled: 1-line block ×4, first 2 shown]
	v_mul_u32_u24_e32 v120, 0x10001, v142
	v_lshrrev_b32_e32 v149, 16, v79
	v_pk_fma_f16 v110, v73, v121, v61
	v_pk_fma_f16 v25, v74, v121, v25
	ds_load_2addr_b64 v[59:62], v44 offset0:128 offset1:160
	v_pk_fma_f16 v112, v74, v120, v112
	v_pk_fma_f16 v24, v73, v120, v24
	v_lshrrev_b32_e32 v120, 16, v51
	v_mul_u32_u24_e32 v121, 0x10001, v140
	v_pk_fma_f16 v72, v74, v122, v72
	v_pk_fma_f16 v71, v73, v122, v71
	v_and_b32_e32 v122, 0xffff, v51
	v_mul_u32_u24_e32 v51, 0x10001, v145
	v_and_b32_e32 v79, 0xffff, v79
	v_pk_fma_f16 v105, v74, v121, v105
	v_pk_fma_f16 v107, v73, v121, v107
	v_mul_u32_u24_e32 v74, 0x10001, v146
	s_wait_dscnt 0x1
	v_pk_fma_f16 v73, v47, v51, v110
	v_pk_fma_f16 v25, v48, v51, v25
	v_mul_u32_u24_e32 v110, 0x10001, v144
	v_mul_u32_u24_e32 v128, 0x10001, v147
	v_mul_u32_u24_e32 v129, 0x10001, v149
	v_lshrrev_b32_e32 v151, 16, v80
	v_lshrrev_b32_e32 v152, 16, v81
	v_and_b32_e32 v80, 0xffff, v80
	v_and_b32_e32 v81, 0xffff, v81
	v_lshrrev_b32_e32 v121, 16, v52
	v_and_b32_e32 v123, 0xffff, v52
	v_lshrrev_b32_e32 v124, 16, v53
	v_lshrrev_b32_e32 v125, 16, v54
	v_and_b32_e32 v126, 0xffff, v53
	v_and_b32_e32 v127, 0xffff, v54
	ds_load_2addr_b64 v[51:54], v44 offset0:192 offset1:224
	v_pk_fma_f16 v112, v48, v74, v112
	v_pk_fma_f16 v105, v48, v110, v105
	;; [unrolled: 1-line block ×8, first 2 shown]
	v_mul_u32_u24_e32 v128, 0x10001, v150
	v_mul_u32_u24_e32 v129, 0x10001, v148
	;; [unrolled: 1-line block ×3, first 2 shown]
	v_lshrrev_b32_e32 v154, 16, v83
	v_and_b32_e32 v83, 0xffff, v83
	v_pk_fma_f16 v112, v50, v128, v112
	v_pk_fma_f16 v24, v49, v128, v24
	;; [unrolled: 1-line block ×4, first 2 shown]
	v_lshrrev_b32_e32 v129, 16, v64
	v_pk_fma_f16 v130, v50, v79, v48
	v_pk_fma_f16 v79, v49, v79, v47
	v_and_b32_e32 v132, 0xffff, v64
	v_lshrrev_b32_e32 v133, 16, v65
	v_lshrrev_b32_e32 v134, 16, v66
	v_and_b32_e32 v135, 0xffff, v65
	v_and_b32_e32 v136, 0xffff, v66
	v_mul_u32_u24_e32 v47, 0x10001, v152
	v_mul_u32_u24_e32 v64, 0x10001, v80
	;; [unrolled: 1-line block ×4, first 2 shown]
	v_lshrrev_b32_e32 v153, 16, v82
	v_and_b32_e32 v82, 0xffff, v82
	v_lshrrev_b32_e32 v97, 16, v85
	v_lshrrev_b32_e32 v128, 16, v63
	v_and_b32_e32 v131, 0xffff, v63
	s_wait_dscnt 0x1
	v_pk_fma_f16 v63, v59, v47, v110
	v_pk_fma_f16 v25, v60, v47, v25
	v_mul_u32_u24_e32 v80, 0x10001, v154
	v_pk_fma_f16 v81, v60, v64, v112
	v_pk_fma_f16 v105, v60, v65, v105
	;; [unrolled: 1-line block ×6, first 2 shown]
	v_mul_u32_u24_e32 v83, 0x10001, v83
	v_lshrrev_b32_e32 v96, 16, v84
	v_and_b32_e32 v84, 0xffff, v84
	v_and_b32_e32 v85, 0xffff, v85
	v_lshrrev_b32_e32 v99, 16, v87
	ds_load_b128 v[75:78], v37 offset:224
	ds_load_2addr_b64 v[71:74], v45 offset1:32
	v_pk_fma_f16 v79, v61, v80, v63
	v_pk_fma_f16 v25, v62, v80, v25
	v_mul_u32_u24_e32 v80, 0x10001, v82
	v_mul_u32_u24_e32 v82, 0x10001, v153
	v_pk_fma_f16 v110, v62, v83, v60
	v_pk_fma_f16 v83, v61, v83, v59
	v_mul_u32_u24_e32 v59, 0x10001, v97
	v_lshrrev_b32_e32 v98, 16, v86
	v_and_b32_e32 v86, 0xffff, v86
	v_and_b32_e32 v87, 0xffff, v87
	v_pk_fma_f16 v81, v62, v80, v81
	v_pk_fma_f16 v24, v61, v80, v24
	v_lshrrev_b32_e32 v80, 16, v67
	v_pk_fma_f16 v105, v62, v82, v105
	v_pk_fma_f16 v82, v61, v82, v107
	v_lshrrev_b32_e32 v107, 16, v68
	v_and_b32_e32 v112, 0xffff, v67
	v_and_b32_e32 v130, 0xffff, v68
	v_lshrrev_b32_e32 v137, 16, v69
	v_lshrrev_b32_e32 v138, 16, v70
	v_and_b32_e32 v139, 0xffff, v69
	v_and_b32_e32 v140, 0xffff, v70
	s_wait_dscnt 0x2
	v_pk_fma_f16 v67, v51, v59, v79
	v_pk_fma_f16 v25, v52, v59, v25
	v_mul_u32_u24_e32 v68, 0x10001, v84
	v_mul_u32_u24_e32 v69, 0x10001, v96
	;; [unrolled: 1-line block ×4, first 2 shown]
	v_lshrrev_b32_e32 v101, 16, v89
	v_lshrrev_b32_e32 v113, 16, v56
	v_and_b32_e32 v115, 0xffff, v56
	v_lshrrev_b32_e32 v116, 16, v57
	v_lshrrev_b32_e32 v117, 16, v58
	v_and_b32_e32 v118, 0xffff, v57
	v_and_b32_e32 v119, 0xffff, v58
	ds_load_b128 v[55:58], v37 offset:240
	v_pk_fma_f16 v81, v52, v68, v81
	v_pk_fma_f16 v84, v52, v69, v105
	;; [unrolled: 1-line block ×8, first 2 shown]
	v_mul_u32_u24_e32 v79, 0x10001, v86
	v_mul_u32_u24_e32 v86, 0x10001, v87
	v_lshrrev_b32_e32 v100, 16, v88
	v_and_b32_e32 v88, 0xffff, v88
	v_and_b32_e32 v89, 0xffff, v89
	v_lshrrev_b32_e32 v103, 16, v91
	ds_load_2addr_b64 v[47:50], v45 offset0:64 offset1:96
	v_mul_u32_u24_e32 v85, 0x10001, v98
	v_pk_fma_f16 v87, v54, v86, v52
	v_pk_fma_f16 v86, v53, v86, v51
	v_mul_u32_u24_e32 v51, 0x10001, v101
	v_lshrrev_b32_e32 v102, 16, v90
	v_and_b32_e32 v90, 0xffff, v90
	v_and_b32_e32 v91, 0xffff, v91
	v_pk_fma_f16 v81, v54, v79, v81
	v_pk_fma_f16 v24, v53, v79, v24
	s_wait_dscnt 0x3
	v_lshrrev_b32_e32 v79, 16, v75
	v_pk_fma_f16 v84, v54, v85, v84
	v_pk_fma_f16 v82, v53, v85, v82
	v_lshrrev_b32_e32 v85, 16, v76
	v_and_b32_e32 v96, 0xffff, v75
	v_and_b32_e32 v97, 0xffff, v76
	v_lshrrev_b32_e32 v98, 16, v77
	v_lshrrev_b32_e32 v99, 16, v78
	v_and_b32_e32 v105, 0xffff, v77
	v_and_b32_e32 v110, 0xffff, v78
	s_wait_dscnt 0x2
	v_pk_fma_f16 v75, v71, v51, v83
	v_pk_fma_f16 v25, v72, v51, v25
	v_mul_u32_u24_e32 v76, 0x10001, v88
	v_mul_u32_u24_e32 v77, 0x10001, v100
	;; [unrolled: 1-line block ×4, first 2 shown]
	v_lshrrev_b32_e32 v104, 16, v92
	v_lshrrev_b32_e32 v106, 16, v93
	v_and_b32_e32 v92, 0xffff, v92
	v_pk_fma_f16 v81, v72, v76, v81
	v_pk_fma_f16 v84, v72, v77, v84
	;; [unrolled: 1-line block ×8, first 2 shown]
	v_mul_u32_u24_e32 v83, 0x10001, v90
	v_mul_u32_u24_e32 v87, 0x10001, v102
	v_mul_u32_u24_e32 v88, 0x10001, v91
	v_and_b32_e32 v93, 0xffff, v93
	v_lshrrev_b32_e32 v109, 16, v95
	v_pk_fma_f16 v81, v74, v83, v81
	v_pk_fma_f16 v24, v73, v83, v24
	s_wait_dscnt 0x1
	v_lshrrev_b32_e32 v83, 16, v55
	v_pk_fma_f16 v84, v74, v87, v84
	v_pk_fma_f16 v82, v73, v87, v82
	;; [unrolled: 1-line block ×4, first 2 shown]
	v_and_b32_e32 v90, 0xffff, v55
	v_mul_u32_u24_e32 v55, 0x10001, v106
	v_mul_u32_u24_e32 v71, 0x10001, v92
	v_mul_u32_u24_e32 v72, 0x10001, v104
	ds_load_2addr_b64 v[63:66], v45 offset0:128 offset1:160
	ds_load_2addr_b64 v[59:62], v45 offset0:192 offset1:224
	ds_load_2addr_b64 v[67:70], v46 offset1:32
	ds_load_2addr_b64 v[51:54], v46 offset0:64 offset1:96
	ds_load_2addr_b64 v[75:78], v46 offset0:128 offset1:160
	v_lshrrev_b32_e32 v87, 16, v56
	v_and_b32_e32 v91, 0xffff, v56
	v_lshrrev_b32_e32 v100, 16, v57
	v_lshrrev_b32_e32 v101, 16, v58
	v_and_b32_e32 v102, 0xffff, v57
	v_and_b32_e32 v103, 0xffff, v58
	s_wait_dscnt 0x5
	v_pk_fma_f16 v86, v47, v55, v86
	v_pk_fma_f16 v25, v48, v55, v25
	ds_load_2addr_b64 v[55:58], v46 offset0:192 offset1:224
	s_wait_loadcnt_dscnt 0x0
	s_barrier_signal -1
	s_barrier_wait -1
	global_inv scope:SCOPE_SE
	v_pk_fma_f16 v81, v48, v71, v81
	v_pk_fma_f16 v84, v48, v72, v84
	;; [unrolled: 1-line block ×4, first 2 shown]
	global_load_b128 v[71:74], v[18:19], off
	v_mul_u32_u24_e32 v18, 0x10001, v93
	v_mul_u32_u24_e32 v19, 0x10001, v109
	v_lshrrev_b32_e32 v108, 16, v94
	v_and_b32_e32 v94, 0xffff, v94
	v_and_b32_e32 v95, 0xffff, v95
	v_pk_fma_f16 v48, v48, v18, v89
	v_pk_fma_f16 v47, v47, v18, v88
	;; [unrolled: 1-line block ×4, first 2 shown]
	global_load_b128 v[16:19], v[16:17], off
	v_mul_u32_u24_e32 v88, 0x10001, v94
	v_mul_u32_u24_e32 v89, 0x10001, v108
	;; [unrolled: 1-line block ×7, first 2 shown]
	v_pk_fma_f16 v81, v50, v88, v81
	v_pk_fma_f16 v84, v50, v89, v84
	v_pk_fma_f16 v48, v50, v92, v48
	v_pk_fma_f16 v24, v49, v88, v24
	v_pk_fma_f16 v50, v49, v89, v82
	v_pk_fma_f16 v47, v49, v92, v47
	v_mul_u32_u24_e32 v106, 0x10001, v118
	v_mul_u32_u24_e32 v108, 0x10001, v116
	v_mul_u32_u24_e32 v109, 0x10001, v119
	v_mul_u32_u24_e32 v111, 0x10001, v117
	v_pk_fma_f16 v49, v63, v104, v86
	v_pk_fma_f16 v81, v64, v93, v81
	v_pk_fma_f16 v82, v64, v94, v84
	v_pk_fma_f16 v48, v64, v95, v48
	v_pk_fma_f16 v25, v64, v104, v25
	v_pk_fma_f16 v24, v63, v93, v24
	v_pk_fma_f16 v50, v63, v94, v50
	v_pk_fma_f16 v47, v63, v95, v47
	v_mul_u32_u24_e32 v113, 0x10001, v122
	v_mul_u32_u24_e32 v114, 0x10001, v120
	v_mul_u32_u24_e32 v115, 0x10001, v123
	v_mul_u32_u24_e32 v116, 0x10001, v121
	v_pk_fma_f16 v49, v65, v111, v49
	v_pk_fma_f16 v63, v66, v106, v81
	;; [unrolled: 12-line block ×11, first 2 shown]
	v_pk_fma_f16 v52, v56, v83, v52
	v_pk_fma_f16 v48, v56, v91, v48
	;; [unrolled: 1-line block ×14, first 2 shown]
	s_wait_loadcnt 0x1
	ds_store_b128 v38, v[71:74]
	s_wait_loadcnt 0x0
	ds_store_b128 v39, v[16:19]
	s_wait_dscnt 0x0
	s_barrier_signal -1
	s_barrier_wait -1
	global_inv scope:SCOPE_SE
	ds_load_b128 v[16:19], v37 offset:256
	ds_load_b128 v[47:50], v37 offset:272
	;; [unrolled: 1-line block ×10, first 2 shown]
	ds_load_2addr_b64 v[83:86], v43 offset1:32
	ds_load_b128 v[87:90], v37 offset:416
	ds_load_b128 v[91:94], v37 offset:432
	ds_load_2addr_b64 v[95:98], v43 offset0:64 offset1:96
	s_wait_dscnt 0xd
	v_lshrrev_b32_e32 v102, 16, v16
	v_and_b32_e32 v107, 0xffff, v17
	v_lshrrev_b32_e32 v108, 16, v18
	s_wait_dscnt 0xc
	v_lshrrev_b32_e32 v113, 16, v48
	v_and_b32_e32 v115, 0xffff, v48
	v_mul_u32_u24_e32 v48, 0x10001, v102
	v_lshrrev_b32_e32 v103, 16, v17
	v_and_b32_e32 v16, 0xffff, v16
	v_and_b32_e32 v111, 0xffff, v19
	v_lshrrev_b32_e32 v116, 16, v49
	v_and_b32_e32 v118, 0xffff, v49
	s_wait_dscnt 0xb
	v_lshrrev_b32_e32 v121, 16, v52
	v_and_b32_e32 v123, 0xffff, v52
	s_wait_dscnt 0xa
	v_lshrrev_b32_e32 v132, 16, v57
	v_and_b32_e32 v134, 0xffff, v57
	v_mul_u32_u24_e32 v49, 0x10001, v107
	s_wait_dscnt 0x3
	v_pk_fma_f16 v52, v83, v48, v100
	v_mul_u32_u24_e32 v57, 0x10001, v108
	v_lshrrev_b32_e32 v109, 16, v19
	v_and_b32_e32 v110, 0xffff, v18
	v_lshrrev_b32_e32 v117, 16, v50
	v_and_b32_e32 v119, 0xffff, v50
	;; [unrolled: 2-line block ×5, first 2 shown]
	v_mul_u32_u24_e32 v16, 0x10001, v16
	v_mul_u32_u24_e32 v50, 0x10001, v103
	v_pk_fma_f16 v54, v83, v49, v101
	v_pk_fma_f16 v56, v84, v49, v106
	;; [unrolled: 1-line block ×3, first 2 shown]
	v_mul_u32_u24_e32 v52, 0x10001, v111
	v_lshrrev_b32_e32 v112, 16, v47
	v_and_b32_e32 v114, 0xffff, v47
	v_lshrrev_b32_e32 v120, 16, v51
	v_and_b32_e32 v122, 0xffff, v51
	;; [unrolled: 2-line block ×5, first 2 shown]
	v_pk_fma_f16 v24, v83, v16, v24
	v_pk_fma_f16 v47, v84, v16, v104
	v_mul_u32_u24_e32 v51, 0x10001, v110
	v_pk_fma_f16 v53, v84, v48, v105
	v_pk_fma_f16 v55, v83, v50, v99
	;; [unrolled: 1-line block ×5, first 2 shown]
	v_mul_u32_u24_e32 v52, 0x10001, v109
	v_lshrrev_b32_e32 v140, 16, v61
	v_and_b32_e32 v142, 0xffff, v61
	v_lshrrev_b32_e32 v144, 16, v63
	v_and_b32_e32 v146, 0xffff, v63
	v_pk_fma_f16 v24, v85, v51, v24
	v_pk_fma_f16 v51, v86, v51, v47
	;; [unrolled: 1-line block ×5, first 2 shown]
	v_mul_u32_u24_e32 v52, 0x10001, v114
	v_mul_u32_u24_e32 v61, 0x10001, v112
	;; [unrolled: 1-line block ×3, first 2 shown]
	v_lshrrev_b32_e32 v137, 16, v60
	v_and_b32_e32 v139, 0xffff, v60
	v_lshrrev_b32_e32 v141, 16, v62
	v_and_b32_e32 v143, 0xffff, v62
	;; [unrolled: 2-line block ×3, first 2 shown]
	v_lshrrev_b32_e32 v148, 16, v65
	v_lshrrev_b32_e32 v149, 16, v66
	v_and_b32_e32 v150, 0xffff, v65
	v_and_b32_e32 v151, 0xffff, v66
	ds_load_2addr_b64 v[16:19], v43 offset0:128 offset1:160
	s_wait_dscnt 0x1
	v_pk_fma_f16 v24, v95, v52, v24
	v_pk_fma_f16 v60, v96, v52, v51
	v_mul_u32_u24_e32 v62, 0x10001, v115
	v_mul_u32_u24_e32 v64, 0x10001, v118
	v_pk_fma_f16 v65, v95, v61, v58
	v_pk_fma_f16 v61, v96, v61, v57
	;; [unrolled: 1-line block ×4, first 2 shown]
	v_mul_u32_u24_e32 v63, 0x10001, v116
	v_pk_fma_f16 v59, v95, v62, v59
	v_pk_fma_f16 v24, v97, v64, v24
	;; [unrolled: 1-line block ×6, first 2 shown]
	v_mul_u32_u24_e32 v61, 0x10001, v119
	v_lshrrev_b32_e32 v152, 16, v67
	v_lshrrev_b32_e32 v153, 16, v68
	v_and_b32_e32 v154, 0xffff, v67
	v_and_b32_e32 v155, 0xffff, v68
	v_pk_fma_f16 v65, v97, v61, v59
	v_mul_u32_u24_e32 v59, 0x10001, v117
	v_lshrrev_b32_e32 v156, 16, v69
	v_lshrrev_b32_e32 v157, 16, v70
	v_and_b32_e32 v158, 0xffff, v69
	v_and_b32_e32 v159, 0xffff, v70
	v_pk_fma_f16 v66, v97, v59, v66
	v_pk_fma_f16 v25, v98, v59, v25
	v_mul_u32_u24_e32 v59, 0x10001, v122
	v_lshrrev_b32_e32 v83, 16, v71
	v_lshrrev_b32_e32 v84, 16, v72
	v_and_b32_e32 v85, 0xffff, v71
	v_and_b32_e32 v86, 0xffff, v72
	v_pk_fma_f16 v67, v98, v61, v62
	s_wait_dscnt 0x0
	v_pk_fma_f16 v68, v17, v59, v60
	v_mul_u32_u24_e32 v69, 0x10001, v120
	v_mul_u32_u24_e32 v70, 0x10001, v123
	;; [unrolled: 1-line block ×4, first 2 shown]
	v_lshrrev_b32_e32 v99, 16, v73
	v_and_b32_e32 v101, 0xffff, v73
	ds_load_2addr_b64 v[55:58], v43 offset0:192 offset1:224
	v_pk_fma_f16 v73, v16, v69, v64
	v_pk_fma_f16 v69, v17, v69, v63
	;; [unrolled: 1-line block ×5, first 2 shown]
	v_mul_u32_u24_e32 v68, 0x10001, v124
	v_lshrrev_b32_e32 v100, 16, v74
	v_and_b32_e32 v102, 0xffff, v74
	v_pk_fma_f16 v74, v16, v70, v65
	v_pk_fma_f16 v24, v16, v59, v24
	;; [unrolled: 1-line block ×4, first 2 shown]
	v_mul_u32_u24_e32 v69, 0x10001, v127
	v_pk_fma_f16 v16, v16, v71, v66
	v_lshrrev_b32_e32 v95, 16, v75
	v_and_b32_e32 v97, 0xffff, v75
	v_pk_fma_f16 v24, v18, v72, v24
	v_pk_fma_f16 v71, v18, v69, v74
	;; [unrolled: 1-line block ×3, first 2 shown]
	v_mul_u32_u24_e32 v69, 0x10001, v125
	v_mul_u32_u24_e32 v73, 0x10001, v128
	;; [unrolled: 1-line block ×4, first 2 shown]
	v_lshrrev_b32_e32 v103, 16, v77
	v_pk_fma_f16 v72, v18, v69, v16
	v_mul_u32_u24_e32 v16, 0x10001, v130
	v_and_b32_e32 v105, 0xffff, v77
	v_pk_fma_f16 v69, v19, v69, v17
	s_wait_dscnt 0x0
	v_pk_fma_f16 v77, v55, v73, v70
	v_pk_fma_f16 v73, v56, v73, v68
	v_pk_fma_f16 v24, v55, v16, v24
	v_pk_fma_f16 v25, v56, v16, v25
	ds_load_2addr_b64 v[16:19], v44 offset1:32
	v_pk_fma_f16 v71, v55, v74, v71
	v_pk_fma_f16 v55, v55, v75, v72
	v_mul_u32_u24_e32 v72, 0x10001, v132
	v_pk_fma_f16 v74, v56, v74, v67
	v_pk_fma_f16 v56, v56, v75, v69
	v_lshrrev_b32_e32 v96, 16, v76
	v_and_b32_e32 v98, 0xffff, v76
	v_pk_fma_f16 v75, v57, v72, v77
	v_pk_fma_f16 v72, v58, v72, v73
	v_mul_u32_u24_e32 v73, 0x10001, v135
	v_mul_u32_u24_e32 v76, 0x10001, v134
	v_lshrrev_b32_e32 v104, 16, v78
	v_and_b32_e32 v106, 0xffff, v78
	v_mul_u32_u24_e32 v77, 0x10001, v136
	v_pk_fma_f16 v71, v57, v73, v71
	v_pk_fma_f16 v73, v58, v73, v74
	v_mul_u32_u24_e32 v74, 0x10001, v133
	v_pk_fma_f16 v24, v57, v76, v24
	v_pk_fma_f16 v25, v58, v76, v25
	v_mul_u32_u24_e32 v78, 0x10001, v139
	v_mul_u32_u24_e32 v115, 0x10001, v137
	v_pk_fma_f16 v76, v57, v74, v55
	v_mul_u32_u24_e32 v55, 0x10001, v138
	ds_load_2addr_b64 v[67:70], v44 offset0:64 offset1:96
	s_wait_dscnt 0x1
	v_pk_fma_f16 v75, v16, v77, v75
	v_pk_fma_f16 v77, v17, v77, v72
	;; [unrolled: 1-line block ×5, first 2 shown]
	v_mul_u32_u24_e32 v76, 0x10001, v140
	v_pk_fma_f16 v25, v17, v55, v25
	v_mul_u32_u24_e32 v116, 0x10001, v142
	v_pk_fma_f16 v78, v17, v78, v73
	ds_load_b128 v[47:50], v37 offset:448
	ds_load_b128 v[51:54], v37 offset:464
	v_pk_fma_f16 v75, v18, v76, v75
	v_pk_fma_f16 v76, v19, v76, v77
	v_mul_u32_u24_e32 v77, 0x10001, v143
	v_pk_fma_f16 v74, v58, v74, v56
	v_pk_fma_f16 v24, v18, v116, v24
	;; [unrolled: 1-line block ×3, first 2 shown]
	ds_load_2addr_b64 v[55:58], v44 offset0:128 offset1:160
	v_pk_fma_f16 v116, v18, v77, v117
	v_pk_fma_f16 v77, v19, v77, v78
	v_mul_u32_u24_e32 v78, 0x10001, v141
	v_pk_fma_f16 v17, v17, v115, v74
	v_mul_u32_u24_e32 v121, 0x10001, v144
	v_mul_u32_u24_e32 v122, 0x10001, v147
	;; [unrolled: 1-line block ×3, first 2 shown]
	v_pk_fma_f16 v118, v18, v78, v16
	v_mul_u32_u24_e32 v16, 0x10001, v146
	v_pk_fma_f16 v78, v19, v78, v17
	s_wait_dscnt 0x3
	v_pk_fma_f16 v125, v67, v121, v75
	v_pk_fma_f16 v116, v67, v122, v116
	v_mul_u32_u24_e32 v124, 0x10001, v150
	v_pk_fma_f16 v24, v67, v16, v24
	v_pk_fma_f16 v67, v67, v123, v118
	;; [unrolled: 1-line block ×3, first 2 shown]
	v_mul_u32_u24_e32 v122, 0x10001, v148
	v_pk_fma_f16 v25, v68, v16, v25
	v_pk_fma_f16 v121, v68, v121, v76
	;; [unrolled: 1-line block ×3, first 2 shown]
	ds_load_2addr_b64 v[71:74], v44 offset0:192 offset1:224
	v_pk_fma_f16 v123, v69, v122, v125
	v_mul_u32_u24_e32 v125, 0x10001, v149
	v_pk_fma_f16 v24, v69, v124, v24
	v_pk_fma_f16 v25, v70, v124, v25
	v_pk_fma_f16 v121, v70, v122, v121
	s_wait_dscnt 0x3
	v_lshrrev_b32_e32 v122, 16, v47
	v_mul_u32_u24_e32 v124, 0x10001, v151
	v_pk_fma_f16 v67, v69, v125, v67
	v_pk_fma_f16 v68, v70, v125, v68
	v_and_b32_e32 v125, 0xffff, v47
	v_mul_u32_u24_e32 v47, 0x10001, v154
	ds_load_b128 v[59:62], v37 offset:480
	ds_load_b128 v[63:66], v37 offset:496
	v_pk_fma_f16 v116, v69, v124, v116
	v_pk_fma_f16 v118, v70, v124, v118
	s_wait_dscnt 0x3
	v_pk_fma_f16 v24, v55, v47, v24
	v_pk_fma_f16 v25, v56, v47, v25
	v_mul_u32_u24_e32 v69, 0x10001, v152
	v_mul_u32_u24_e32 v70, 0x10001, v155
	;; [unrolled: 1-line block ×4, first 2 shown]
	ds_load_2addr_b64 v[16:19], v45 offset1:32
	v_pk_fma_f16 v123, v55, v69, v123
	v_pk_fma_f16 v121, v56, v69, v121
	v_pk_fma_f16 v116, v55, v70, v116
	v_pk_fma_f16 v55, v55, v131, v67
	v_pk_fma_f16 v118, v56, v70, v118
	v_pk_fma_f16 v56, v56, v131, v68
	v_pk_fma_f16 v24, v57, v132, v24
	v_pk_fma_f16 v25, v58, v132, v25
	v_mul_u32_u24_e32 v131, 0x10001, v156
	v_mul_u32_u24_e32 v132, 0x10001, v159
	v_mul_u32_u24_e32 v133, 0x10001, v157
	v_mul_u32_u24_e32 v100, 0x10001, v100
	ds_load_2addr_b64 v[75:78], v45 offset0:64 offset1:96
	v_pk_fma_f16 v123, v57, v131, v123
	v_pk_fma_f16 v121, v58, v131, v121
	v_lshrrev_b32_e32 v131, 16, v51
	v_pk_fma_f16 v116, v57, v132, v116
	v_pk_fma_f16 v118, v58, v132, v118
	;; [unrolled: 1-line block ×4, first 2 shown]
	v_and_b32_e32 v133, 0xffff, v51
	v_mul_u32_u24_e32 v51, 0x10001, v85
	v_mul_u32_u24_e32 v57, 0x10001, v83
	;; [unrolled: 1-line block ×5, first 2 shown]
	s_wait_dscnt 0x4
	v_pk_fma_f16 v24, v71, v51, v24
	v_pk_fma_f16 v25, v72, v51, v25
	;; [unrolled: 1-line block ×8, first 2 shown]
	v_mul_u32_u24_e32 v83, 0x10001, v99
	v_pk_fma_f16 v24, v73, v84, v24
	v_pk_fma_f16 v25, v74, v84, v25
	;; [unrolled: 1-line block ×6, first 2 shown]
	s_wait_dscnt 0x3
	v_lshrrev_b32_e32 v85, 16, v59
	v_mul_u32_u24_e32 v86, 0x10001, v102
	v_and_b32_e32 v100, 0xffff, v59
	v_mul_u32_u24_e32 v59, 0x10001, v97
	v_lshrrev_b32_e32 v107, 16, v79
	v_lshrrev_b32_e32 v108, 16, v80
	v_pk_fma_f16 v99, v73, v86, v101
	v_pk_fma_f16 v86, v74, v86, v116
	s_wait_dscnt 0x1
	v_pk_fma_f16 v24, v16, v59, v24
	v_pk_fma_f16 v25, v17, v59, v25
	v_mul_u32_u24_e32 v73, 0x10001, v95
	v_mul_u32_u24_e32 v74, 0x10001, v98
	;; [unrolled: 1-line block ×4, first 2 shown]
	v_and_b32_e32 v79, 0xffff, v79
	v_and_b32_e32 v80, 0xffff, v80
	v_lshrrev_b32_e32 v124, 16, v48
	v_and_b32_e32 v126, 0xffff, v48
	v_lshrrev_b32_e32 v127, 16, v49
	v_lshrrev_b32_e32 v128, 16, v50
	v_and_b32_e32 v129, 0xffff, v49
	v_and_b32_e32 v130, 0xffff, v50
	ds_load_2addr_b64 v[47:50], v45 offset0:128 offset1:160
	v_pk_fma_f16 v84, v16, v73, v84
	v_pk_fma_f16 v83, v17, v73, v83
	;; [unrolled: 1-line block ×8, first 2 shown]
	v_mul_u32_u24_e32 v95, 0x10001, v103
	v_mul_u32_u24_e32 v96, 0x10001, v106
	;; [unrolled: 1-line block ×3, first 2 shown]
	v_lshrrev_b32_e32 v109, 16, v81
	v_lshrrev_b32_e32 v110, 16, v82
	v_and_b32_e32 v81, 0xffff, v81
	v_and_b32_e32 v82, 0xffff, v82
	v_pk_fma_f16 v84, v18, v95, v84
	v_pk_fma_f16 v83, v19, v95, v83
	;; [unrolled: 1-line block ×6, first 2 shown]
	v_mul_u32_u24_e32 v79, 0x10001, v79
	v_mul_u32_u24_e32 v98, 0x10001, v107
	;; [unrolled: 1-line block ×4, first 2 shown]
	v_lshrrev_b32_e32 v111, 16, v87
	v_lshrrev_b32_e32 v112, 16, v88
	v_and_b32_e32 v87, 0xffff, v87
	v_and_b32_e32 v88, 0xffff, v88
	ds_load_2addr_b64 v[67:70], v45 offset0:192 offset1:224
	v_mul_u32_u24_e32 v81, 0x10001, v81
	v_mul_u32_u24_e32 v103, 0x10001, v109
	;; [unrolled: 1-line block ×4, first 2 shown]
	s_wait_dscnt 0x2
	v_pk_fma_f16 v24, v75, v79, v24
	v_pk_fma_f16 v84, v75, v98, v84
	;; [unrolled: 1-line block ×8, first 2 shown]
	v_lshrrev_b32_e32 v113, 16, v89
	v_lshrrev_b32_e32 v114, 16, v90
	v_and_b32_e32 v89, 0xffff, v89
	v_and_b32_e32 v90, 0xffff, v90
	v_mul_u32_u24_e32 v87, 0x10001, v87
	v_mul_u32_u24_e32 v105, 0x10001, v111
	;; [unrolled: 1-line block ×4, first 2 shown]
	v_pk_fma_f16 v24, v77, v81, v24
	v_pk_fma_f16 v76, v77, v103, v84
	;; [unrolled: 1-line block ×8, first 2 shown]
	v_lshrrev_b32_e32 v115, 16, v91
	v_lshrrev_b32_e32 v117, 16, v92
	v_and_b32_e32 v91, 0xffff, v91
	v_and_b32_e32 v92, 0xffff, v92
	v_lshrrev_b32_e32 v132, 16, v52
	v_and_b32_e32 v134, 0xffff, v52
	v_lshrrev_b32_e32 v135, 16, v53
	v_lshrrev_b32_e32 v136, 16, v54
	v_and_b32_e32 v137, 0xffff, v53
	v_and_b32_e32 v138, 0xffff, v54
	ds_load_2addr_b64 v[51:54], v46 offset1:32
	v_mul_u32_u24_e32 v89, 0x10001, v89
	v_mul_u32_u24_e32 v107, 0x10001, v113
	;; [unrolled: 1-line block ×4, first 2 shown]
	s_wait_dscnt 0x2
	v_pk_fma_f16 v24, v47, v87, v24
	v_pk_fma_f16 v76, v47, v105, v76
	;; [unrolled: 1-line block ×8, first 2 shown]
	v_lshrrev_b32_e32 v119, 16, v93
	v_lshrrev_b32_e32 v120, 16, v94
	v_and_b32_e32 v93, 0xffff, v93
	v_and_b32_e32 v94, 0xffff, v94
	v_mul_u32_u24_e32 v91, 0x10001, v91
	v_mul_u32_u24_e32 v109, 0x10001, v115
	;; [unrolled: 1-line block ×4, first 2 shown]
	v_pk_fma_f16 v24, v49, v89, v24
	v_pk_fma_f16 v48, v49, v107, v76
	;; [unrolled: 1-line block ×8, first 2 shown]
	ds_load_2addr_b64 v[55:58], v46 offset0:64 offset1:96
	v_mul_u32_u24_e32 v93, 0x10001, v93
	v_mul_u32_u24_e32 v111, 0x10001, v119
	;; [unrolled: 1-line block ×4, first 2 shown]
	s_wait_dscnt 0x2
	v_pk_fma_f16 v24, v67, v91, v24
	v_pk_fma_f16 v48, v67, v109, v48
	;; [unrolled: 1-line block ×8, first 2 shown]
	v_mul_u32_u24_e32 v113, 0x10001, v125
	v_mul_u32_u24_e32 v114, 0x10001, v122
	;; [unrolled: 1-line block ×4, first 2 shown]
	v_pk_fma_f16 v24, v69, v93, v24
	v_pk_fma_f16 v48, v69, v111, v48
	;; [unrolled: 1-line block ×8, first 2 shown]
	v_lshrrev_b32_e32 v101, 16, v60
	v_and_b32_e32 v102, 0xffff, v60
	v_lshrrev_b32_e32 v116, 16, v61
	v_lshrrev_b32_e32 v118, 16, v62
	v_and_b32_e32 v121, 0xffff, v61
	v_and_b32_e32 v123, 0xffff, v62
	ds_load_2addr_b64 v[59:62], v46 offset0:128 offset1:160
	v_mul_u32_u24_e32 v119, 0x10001, v129
	v_mul_u32_u24_e32 v120, 0x10001, v127
	;; [unrolled: 1-line block ×4, first 2 shown]
	s_wait_dscnt 0x2
	v_pk_fma_f16 v24, v51, v113, v24
	v_pk_fma_f16 v48, v51, v114, v48
	;; [unrolled: 1-line block ×8, first 2 shown]
	v_mul_u32_u24_e32 v125, 0x10001, v133
	v_mul_u32_u24_e32 v126, 0x10001, v131
	v_mul_u32_u24_e32 v127, 0x10001, v134
	v_mul_u32_u24_e32 v128, 0x10001, v132
	v_pk_fma_f16 v24, v53, v119, v24
	v_pk_fma_f16 v48, v53, v120, v48
	;; [unrolled: 1-line block ×8, first 2 shown]
	ds_load_2addr_b64 v[71:74], v46 offset0:192 offset1:224
	v_mul_u32_u24_e32 v129, 0x10001, v137
	v_mul_u32_u24_e32 v130, 0x10001, v135
	;; [unrolled: 1-line block ×4, first 2 shown]
	s_wait_dscnt 0x2
	v_pk_fma_f16 v24, v55, v125, v24
	v_pk_fma_f16 v48, v55, v126, v48
	;; [unrolled: 1-line block ×8, first 2 shown]
	s_wait_loadcnt_dscnt 0x0
	s_barrier_signal -1
	s_barrier_wait -1
	global_inv scope:SCOPE_SE
	s_load_b32 s2, s[54:55], 0x4
	v_mul_u32_u24_e32 v100, 0x10001, v100
	v_mul_u32_u24_e32 v85, 0x10001, v85
	;; [unrolled: 1-line block ×4, first 2 shown]
	v_pk_fma_f16 v24, v57, v129, v24
	v_pk_fma_f16 v48, v57, v130, v48
	;; [unrolled: 1-line block ×8, first 2 shown]
	v_lshrrev_b32_e32 v95, 16, v63
	v_lshrrev_b32_e32 v96, 16, v64
	v_and_b32_e32 v18, 0xffff, v63
	v_and_b32_e32 v19, 0xffff, v64
	v_mul_u32_u24_e32 v121, 0x10001, v121
	v_mul_u32_u24_e32 v116, 0x10001, v116
	;; [unrolled: 1-line block ×4, first 2 shown]
	v_pk_fma_f16 v24, v59, v100, v24
	v_pk_fma_f16 v48, v59, v85, v48
	;; [unrolled: 1-line block ×8, first 2 shown]
	v_lshrrev_b32_e32 v63, 16, v65
	v_lshrrev_b32_e32 v64, 16, v66
	v_and_b32_e32 v65, 0xffff, v65
	v_and_b32_e32 v66, 0xffff, v66
	v_mul_u32_u24_e32 v18, 0x10001, v18
	v_mul_u32_u24_e32 v95, 0x10001, v95
	;; [unrolled: 1-line block ×4, first 2 shown]
	v_pk_fma_f16 v24, v61, v121, v24
	v_pk_fma_f16 v48, v61, v116, v48
	;; [unrolled: 1-line block ×8, first 2 shown]
	v_mul_u32_u24_e32 v65, 0x10001, v65
	v_mul_u32_u24_e32 v63, 0x10001, v63
	;; [unrolled: 1-line block ×4, first 2 shown]
	v_pk_fma_f16 v24, v71, v18, v24
	v_pk_fma_f16 v48, v71, v95, v48
	;; [unrolled: 1-line block ×8, first 2 shown]
	s_wait_kmcnt 0x0
	s_lshl_b32 s2, s2, 6
	v_pk_fma_f16 v53, v73, v65, v24
	v_pk_fma_f16 v51, v73, v63, v48
	;; [unrolled: 1-line block ×8, first 2 shown]
	s_wait_alu 0xfffe
	s_add_co_i32 s36, s2, s36
	s_wait_alu 0xfffe
	s_cmp_ge_i32 s36, s34
	s_cbranch_scc0 .LBB9_17
; %bb.18:
	v_dual_mov_b32 v5, 32 :: v_dual_mov_b32 v6, v28
.LBB9_19:
	s_delay_alu instid0(VALU_DEP_1)
	v_cmp_lt_i32_e32 vcc_lo, v33, v5
	s_cmp_lg_u64 s[44:45], 0
	s_cselect_b32 s2, -1, 0
	s_cmp_eq_u32 s30, 0
	s_wait_alu 0xfffd
	v_cndmask_b32_e32 v4, v6, v33, vcc_lo
	v_cmp_lt_i32_e32 vcc_lo, v32, v5
	s_cselect_b32 s3, -1, 0
	s_wait_alu 0xfffe
	s_and_b32 s2, s3, s2
	v_lshlrev_b32_e32 v4, 2, v4
	ds_bpermute_b32 v9, v4, v20
	s_wait_dscnt 0x0
	v_add_f32_e32 v9, v20, v9
	ds_bpermute_b32 v7, v4, v23
	ds_bpermute_b32 v8, v4, v22
	ds_bpermute_b32 v4, v4, v21
	s_wait_dscnt 0x2
	s_wait_alu 0xfffd
	v_dual_add_f32 v7, v23, v7 :: v_dual_cndmask_b32 v10, v6, v32
	s_wait_dscnt 0x0
	v_add_f32_e32 v4, v21, v4
	v_cmp_lt_i32_e32 vcc_lo, v31, v5
	s_delay_alu instid0(VALU_DEP_3)
	v_lshlrev_b32_e32 v10, 2, v10
	ds_bpermute_b32 v15, v10, v9
	s_wait_dscnt 0x0
	v_add_f32_e32 v9, v9, v15
	ds_bpermute_b32 v11, v10, v7
	s_wait_alu 0xfffd
	v_cndmask_b32_e32 v16, v6, v31, vcc_lo
	v_cmp_lt_i32_e32 vcc_lo, v30, v5
	s_wait_dscnt 0x0
	s_delay_alu instid0(VALU_DEP_2)
	v_dual_add_f32 v7, v7, v11 :: v_dual_lshlrev_b32 v16, 2, v16
	v_add_f32_e32 v8, v22, v8
	ds_bpermute_b32 v14, v10, v8
	ds_bpermute_b32 v10, v10, v4
	s_wait_dscnt 0x0
	v_add_f32_e32 v4, v4, v10
	ds_bpermute_b32 v10, v16, v7
	ds_bpermute_b32 v15, v16, v4
	s_wait_dscnt 0x1
	v_add_f32_e32 v7, v7, v10
	v_add_f32_e32 v8, v8, v14
	ds_bpermute_b32 v14, v16, v9
	s_wait_dscnt 0x1
	v_add_f32_e32 v4, v4, v15
	ds_bpermute_b32 v11, v16, v8
	s_wait_alu 0xfffd
	v_cndmask_b32_e32 v16, v6, v30, vcc_lo
	v_cmp_lt_i32_e32 vcc_lo, v29, v5
	s_wait_alu 0xfffd
	s_delay_alu instid0(VALU_DEP_2)
	v_dual_cndmask_b32 v5, v6, v29 :: v_dual_lshlrev_b32 v16, 2, v16
	s_wait_alu 0xfffe
	s_and_b32 vcc_lo, exec_lo, s2
	ds_bpermute_b32 v10, v16, v7
	v_lshlrev_b32_e32 v5, 2, v5
	ds_bpermute_b32 v15, v16, v4
	s_wait_dscnt 0x2
	v_dual_add_f32 v9, v9, v14 :: v_dual_add_f32 v8, v8, v11
	ds_bpermute_b32 v14, v16, v9
	ds_bpermute_b32 v11, v16, v8
	s_wait_dscnt 0x0
	v_dual_add_f32 v6, v7, v10 :: v_dual_add_f32 v7, v8, v11
	v_dual_add_f32 v8, v9, v14 :: v_dual_add_f32 v9, v4, v15
	ds_bpermute_b32 v4, v5, v6
	ds_bpermute_b32 v10, v5, v7
	;; [unrolled: 1-line block ×4, first 2 shown]
	s_wait_dscnt 0x2
	v_dual_add_f32 v4, v6, v4 :: v_dual_add_f32 v5, v7, v10
	s_wait_dscnt 0x0
	v_dual_add_f32 v6, v8, v11 :: v_dual_add_f32 v7, v9, v14
	s_wait_alu 0xfffe
	s_cbranch_vccz .LBB9_22
; %bb.20:
	v_dual_max_num_f32 v15, v1, v1 :: v_dual_add_nc_u32 v8, s31, v26
	s_delay_alu instid0(VALU_DEP_1) | instskip(NEXT) | instid1(VALU_DEP_1)
	v_ashrrev_i32_e32 v9, 31, v8
	v_lshlrev_b64_e32 v[8:9], 2, v[8:9]
	s_delay_alu instid0(VALU_DEP_1) | instskip(SKIP_1) | instid1(VALU_DEP_2)
	v_add_co_u32 v8, vcc_lo, s44, v8
	s_wait_alu 0xfffd
	v_add_co_ci_u32_e64 v9, null, s45, v9, vcc_lo
	global_load_b128 v[8:11], v[8:9], off
	v_max_num_f32_e32 v14, v0, v0
	s_wait_loadcnt 0x0
	v_dual_max_num_f32 v16, v2, v2 :: v_dual_max_num_f32 v17, v8, v8
	v_dual_max_num_f32 v19, v9, v9 :: v_dual_max_num_f32 v20, v10, v10
	s_delay_alu instid0(VALU_DEP_2) | instskip(NEXT) | instid1(VALU_DEP_2)
	v_dual_max_num_f32 v21, v11, v11 :: v_dual_max_num_f32 v14, v14, v17
	v_dual_max_num_f32 v15, v15, v19 :: v_dual_max_num_f32 v16, v16, v20
	v_max_num_f32_e32 v18, v3, v3
	s_delay_alu instid0(VALU_DEP_2) | instskip(SKIP_1) | instid1(VALU_DEP_3)
	v_dual_sub_f32 v8, v8, v14 :: v_dual_sub_f32 v9, v9, v15
	v_sub_f32_e32 v19, v1, v15
	v_dual_max_num_f32 v17, v18, v21 :: v_dual_sub_f32 v18, v0, v14
	v_sub_f32_e32 v20, v2, v16
	s_delay_alu instid0(VALU_DEP_2)
	v_dual_sub_f32 v10, v10, v16 :: v_dual_sub_f32 v11, v11, v17
	v_dual_sub_f32 v21, v3, v17 :: v_dual_mov_b32 v0, v14
	v_dual_mov_b32 v1, v15 :: v_dual_mov_b32 v2, v16
	v_dual_mov_b32 v3, v17 :: v_dual_mul_f32 v14, 0x3fb8aa3b, v18
	v_mul_f32_e32 v17, 0x3fb8aa3b, v9
	v_dual_mul_f32 v15, 0x3fb8aa3b, v8 :: v_dual_mul_f32 v16, 0x3fb8aa3b, v19
	v_mul_f32_e32 v23, 0x3fb8aa3b, v10
	s_delay_alu instid0(VALU_DEP_4)
	v_fma_f32 v28, 0x3fb8aa3b, v18, -v14
	v_rndne_f32_e32 v29, v14
	v_dual_mul_f32 v22, 0x3fb8aa3b, v20 :: v_dual_mul_f32 v25, 0x3fb8aa3b, v11
	v_fma_f32 v30, 0x3fb8aa3b, v8, -v15
	v_rndne_f32_e32 v31, v15
	v_rndne_f32_e32 v35, v17
	v_rndne_f32_e32 v39, v23
	v_fmac_f32_e32 v28, 0x32a5705f, v18
	v_sub_f32_e32 v14, v14, v29
	v_dual_mul_f32 v24, 0x3fb8aa3b, v21 :: v_dual_sub_f32 v15, v15, v31
	v_fma_f32 v32, 0x3fb8aa3b, v19, -v16
	v_fma_f32 v34, 0x3fb8aa3b, v9, -v17
	v_fma_f32 v38, 0x3fb8aa3b, v10, -v23
	v_rndne_f32_e32 v43, v25
	v_dual_fmac_f32 v30, 0x32a5705f, v8 :: v_dual_sub_f32 v17, v17, v35
	v_dual_sub_f32 v23, v23, v39 :: v_dual_add_f32 v14, v14, v28
	v_rndne_f32_e32 v33, v16
	v_fma_f32 v42, 0x3fb8aa3b, v11, -v25
	v_dual_fmac_f32 v38, 0x32a5705f, v10 :: v_dual_sub_f32 v25, v25, v43
	v_dual_fmac_f32 v32, 0x32a5705f, v19 :: v_dual_add_f32 v15, v15, v30
	v_exp_f32_e32 v14, v14
	v_cvt_i32_f32_e32 v29, v29
	s_delay_alu instid0(VALU_DEP_3)
	v_dual_fmac_f32 v34, 0x32a5705f, v9 :: v_dual_add_f32 v23, v23, v38
	v_sub_f32_e32 v16, v16, v33
	v_exp_f32_e32 v15, v15
	v_fma_f32 v36, 0x3fb8aa3b, v20, -v22
	v_rndne_f32_e32 v37, v22
	v_cvt_i32_f32_e32 v31, v31
	v_dual_add_f32 v17, v17, v34 :: v_dual_add_f32 v16, v16, v32
	s_delay_alu instid0(TRANS32_DEP_2)
	v_ldexp_f32 v14, v14, v29
	v_cmp_ngt_f32_e32 vcc_lo, 0xc2ce8ed0, v18
	v_fmac_f32_e32 v42, 0x32a5705f, v11
	v_fmac_f32_e32 v36, 0x32a5705f, v20
	v_exp_f32_e32 v16, v16
	v_ldexp_f32 v15, v15, v31
	s_wait_alu 0xfffd
	v_cndmask_b32_e32 v14, 0, v14, vcc_lo
	v_cmp_ngt_f32_e32 vcc_lo, 0xc2ce8ed0, v8
	v_sub_f32_e32 v22, v22, v37
	v_cvt_i32_f32_e32 v33, v33
	v_add_f32_e32 v25, v25, v42
	v_exp_f32_e32 v17, v17
	s_wait_alu 0xfffd
	v_dual_cndmask_b32 v15, 0, v15 :: v_dual_add_f32 v22, v22, v36
	v_cvt_i32_f32_e32 v35, v35
	v_ldexp_f32 v16, v16, v33
	v_cmp_ngt_f32_e32 vcc_lo, 0xc2ce8ed0, v19
	v_cvt_i32_f32_e32 v37, v37
	v_exp_f32_e32 v22, v22
	v_exp_f32_e32 v23, v23
	v_fma_f32 v40, 0x3fb8aa3b, v21, -v24
	v_ldexp_f32 v17, v17, v35
	s_wait_alu 0xfffd
	v_cndmask_b32_e32 v16, 0, v16, vcc_lo
	v_cmp_ngt_f32_e32 vcc_lo, 0xc2ce8ed0, v9
	v_rndne_f32_e32 v41, v24
	v_cvt_i32_f32_e32 v39, v39
	v_exp_f32_e32 v25, v25
	v_cvt_i32_f32_e32 v30, v43
	v_ldexp_f32 v22, v22, v37
	s_wait_alu 0xfffd
	v_cndmask_b32_e32 v17, 0, v17, vcc_lo
	v_cmp_ngt_f32_e32 vcc_lo, 0xc2ce8ed0, v20
	v_sub_f32_e32 v24, v24, v41
	v_ldexp_f32 v23, v23, v39
	v_cvt_i32_f32_e32 v28, v41
	s_wait_alu 0xfffd
	v_cndmask_b32_e32 v22, 0, v22, vcc_lo
	v_cmp_ngt_f32_e32 vcc_lo, 0xc2ce8ed0, v10
	v_fmac_f32_e32 v40, 0x32a5705f, v21
	v_ldexp_f32 v25, v25, v30
	s_wait_alu 0xfffd
	s_delay_alu instid0(VALU_DEP_2) | instskip(SKIP_1) | instid1(VALU_DEP_2)
	v_dual_cndmask_b32 v23, 0, v23 :: v_dual_add_f32 v24, v24, v40
	v_cmp_ngt_f32_e32 vcc_lo, 0xc2ce8ed0, v21
	v_exp_f32_e32 v24, v24
	s_delay_alu instid0(TRANS32_DEP_1) | instskip(SKIP_1) | instid1(VALU_DEP_1)
	v_ldexp_f32 v24, v24, v28
	s_wait_alu 0xfffd
	v_cndmask_b32_e32 v24, 0, v24, vcc_lo
	v_cmp_ngt_f32_e32 vcc_lo, 0xc2ce8ed0, v11
	s_wait_alu 0xfffd
	v_cndmask_b32_e32 v25, 0, v25, vcc_lo
	v_cmp_nlt_f32_e32 vcc_lo, 0x42b17218, v18
	s_wait_alu 0xfffd
	v_cndmask_b32_e32 v14, 0x7f800000, v14, vcc_lo
	v_cmp_nlt_f32_e32 vcc_lo, 0x42b17218, v8
	;; [unrolled: 3-line block ×3, first 2 shown]
	s_wait_alu 0xfffd
	s_delay_alu instid0(VALU_DEP_2)
	v_dual_fmac_f32 v8, v4, v14 :: v_dual_cndmask_b32 v15, 0x7f800000, v16
	v_cmp_nlt_f32_e32 vcc_lo, 0x42b17218, v9
	v_cvt_f16_f32_e32 v4, v14
	s_wait_alu 0xfffd
	v_cndmask_b32_e32 v9, 0x7f800000, v17, vcc_lo
	v_cmp_nlt_f32_e32 vcc_lo, 0x42b17218, v20
	s_delay_alu instid0(VALU_DEP_2) | instskip(SKIP_1) | instid1(VALU_DEP_1)
	v_fmac_f32_e32 v9, v5, v15
	v_cvt_f16_f32_e32 v5, v15
	v_and_b32_e32 v15, 0xffff, v5
	s_wait_alu 0xfffd
	s_delay_alu instid0(VALU_DEP_3) | instskip(SKIP_1) | instid1(VALU_DEP_3)
	v_dual_mov_b32 v5, v9 :: v_dual_cndmask_b32 v16, 0x7f800000, v22
	v_cmp_nlt_f32_e32 vcc_lo, 0x42b17218, v10
	v_mul_u32_u24_e32 v15, 0x10001, v15
	s_wait_alu 0xfffd
	v_cndmask_b32_e32 v10, 0x7f800000, v23, vcc_lo
	v_cmp_nlt_f32_e32 vcc_lo, 0x42b17218, v21
	s_delay_alu instid0(VALU_DEP_3) | instskip(SKIP_1) | instid1(VALU_DEP_4)
	v_pk_mul_f16 v51, v51, v15
	v_pk_mul_f16 v52, v52, v15
	v_fmac_f32_e32 v10, v6, v16
	s_wait_alu 0xfffd
	v_cndmask_b32_e32 v17, 0x7f800000, v24, vcc_lo
	v_cmp_nlt_f32_e32 vcc_lo, 0x42b17218, v11
	v_cvt_f16_f32_e32 v6, v16
	s_delay_alu instid0(VALU_DEP_3) | instskip(SKIP_2) | instid1(VALU_DEP_3)
	v_cvt_f16_f32_e32 v14, v17
	s_wait_alu 0xfffd
	v_cndmask_b32_e32 v11, 0x7f800000, v25, vcc_lo
	v_and_b32_e32 v16, 0xffff, v6
	v_mov_b32_e32 v6, v10
	s_delay_alu instid0(VALU_DEP_3) | instskip(SKIP_1) | instid1(VALU_DEP_4)
	v_dual_fmac_f32 v11, v7, v17 :: v_dual_and_b32 v14, 0xffff, v14
	v_and_b32_e32 v7, 0xffff, v4
	v_mul_u32_u24_e32 v16, 0x10001, v16
	v_mov_b32_e32 v4, v8
	s_delay_alu instid0(VALU_DEP_4) | instskip(NEXT) | instid1(VALU_DEP_4)
	v_mul_u32_u24_e32 v14, 0x10001, v14
	v_mul_u32_u24_e32 v7, 0x10001, v7
	s_delay_alu instid0(VALU_DEP_4) | instskip(SKIP_1) | instid1(VALU_DEP_4)
	v_pk_mul_f16 v48, v48, v16
	v_pk_mul_f16 v50, v50, v16
	;; [unrolled: 1-line block ×6, first 2 shown]
	v_mov_b32_e32 v7, v11
	s_mov_b32 s2, exec_lo
	v_cmpx_gt_i32_e64 s26, v12
	s_cbranch_execnz .LBB9_23
.LBB9_21:
	s_nop 0
	s_sendmsg sendmsg(MSG_DEALLOC_VGPRS)
	s_endpgm
.LBB9_22:
	s_delay_alu instid0(VALU_DEP_1)
	v_dual_mov_b32 v11, v7 :: v_dual_mov_b32 v10, v6
	v_dual_mov_b32 v9, v5 :: v_dual_mov_b32 v8, v4
	s_mov_b32 s2, exec_lo
	v_cmpx_gt_i32_e64 s26, v12
	s_cbranch_execz .LBB9_21
.LBB9_23:
	s_load_b32 s1, s[0:1], 0xd4
	v_mov_b32_e32 v16, 1.0
	s_wait_kmcnt 0x0
	s_cmp_lg_u32 s1, 1
	s_cselect_b32 s3, -1, 0
	s_cmp_eq_u32 s1, 1
	s_cselect_b32 s2, -1, 0
	s_wait_alu 0xfffe
	s_and_b32 vcc_lo, exec_lo, s3
	s_wait_alu 0xfffe
	s_cbranch_vccnz .LBB9_25
; %bb.24:
	v_div_scale_f32 v14, null, v4, v4, 1.0
	s_delay_alu instid0(VALU_DEP_1) | instskip(NEXT) | instid1(TRANS32_DEP_1)
	v_rcp_f32_e32 v15, v14
	v_fma_f32 v16, -v14, v15, 1.0
	s_delay_alu instid0(VALU_DEP_1) | instskip(SKIP_1) | instid1(VALU_DEP_1)
	v_fmac_f32_e32 v15, v16, v15
	v_div_scale_f32 v16, vcc_lo, 1.0, v4, 1.0
	v_mul_f32_e32 v17, v16, v15
	s_delay_alu instid0(VALU_DEP_1) | instskip(NEXT) | instid1(VALU_DEP_1)
	v_fma_f32 v18, -v14, v17, v16
	v_fmac_f32_e32 v17, v18, v15
	s_delay_alu instid0(VALU_DEP_1) | instskip(SKIP_1) | instid1(VALU_DEP_1)
	v_fma_f32 v14, -v14, v17, v16
	s_wait_alu 0xfffd
	v_div_fmas_f32 v14, v14, v15, v17
	s_delay_alu instid0(VALU_DEP_1)
	v_div_fixup_f32 v16, v14, v4, 1.0
.LBB9_25:
	v_mad_co_u64_u32 v[14:15], null, s28, s26, v[12:13]
	v_cmp_eq_u32_e32 vcc_lo, 0, v13
	v_cvt_f32_f16_e32 v18, v54
	v_cvt_f32_f16_e32 v17, v53
	s_delay_alu instid0(VALU_DEP_2) | instskip(SKIP_1) | instid1(VALU_DEP_3)
	v_mul_f32_e32 v19, v16, v18
	v_mul_lo_u32 v4, v14, s27
	v_mul_f32_e32 v17, v16, v17
	s_delay_alu instid0(VALU_DEP_2) | instskip(NEXT) | instid1(VALU_DEP_1)
	v_add3_u32 v4, s31, v26, v4
	v_mad_co_u64_u32 v[14:15], null, s1, v4, s[30:31]
	v_lshrrev_b32_e32 v4, 16, v53
	v_lshrrev_b32_e32 v15, 16, v54
	s_delay_alu instid0(VALU_DEP_2) | instskip(SKIP_2) | instid1(VALU_DEP_4)
	v_cvt_f32_f16_e32 v4, v4
	v_mov_b32_e32 v13, 0
	v_lshl_add_u32 v12, v14, 7, v27
	v_cvt_f32_f16_e32 v15, v15
	s_delay_alu instid0(VALU_DEP_4) | instskip(NEXT) | instid1(VALU_DEP_3)
	v_mul_f32_e32 v18, v16, v4
	v_lshlrev_b64_e32 v[12:13], 2, v[12:13]
	s_delay_alu instid0(VALU_DEP_3) | instskip(NEXT) | instid1(VALU_DEP_2)
	v_mul_f32_e32 v20, v16, v15
	v_add_co_u32 v12, s0, s48, v12
	s_wait_alu 0xf1ff
	s_delay_alu instid0(VALU_DEP_3)
	v_add_co_ci_u32_e64 v13, null, s49, v13, s0
	s_and_b32 s0, vcc_lo, s3
	global_store_b128 v[12:13], v[17:20], off
	s_wait_alu 0xfffe
	s_and_saveexec_b32 s3, s0
	s_cbranch_execz .LBB9_27
; %bb.26:
	v_ashrrev_i32_e32 v15, 31, v14
	v_mov_b32_e32 v16, v8
	s_delay_alu instid0(VALU_DEP_2) | instskip(SKIP_1) | instid1(VALU_DEP_2)
	v_lshlrev_b64_e32 v[12:13], 3, v[14:15]
	v_mov_b32_e32 v15, v0
	v_add_co_u32 v12, vcc_lo, s50, v12
	s_wait_alu 0xfffd
	s_delay_alu instid0(VALU_DEP_3)
	v_add_co_ci_u32_e64 v13, null, s51, v13, vcc_lo
	global_store_b64 v[12:13], v[15:16], off
.LBB9_27:
	s_wait_alu 0xfffe
	s_or_b32 exec_lo, exec_lo, s3
	v_cndmask_b32_e64 v12, 0, 1, s2
	v_mov_b32_e32 v0, 1.0
	s_and_not1_b32 vcc_lo, exec_lo, s2
	s_wait_alu 0xfffe
	s_cbranch_vccnz .LBB9_29
; %bb.28:
	v_div_scale_f32 v0, null, v5, v5, 1.0
	s_delay_alu instid0(VALU_DEP_1) | instskip(NEXT) | instid1(TRANS32_DEP_1)
	v_rcp_f32_e32 v4, v0
	v_fma_f32 v8, -v0, v4, 1.0
	s_delay_alu instid0(VALU_DEP_1) | instskip(SKIP_1) | instid1(VALU_DEP_1)
	v_fmac_f32_e32 v4, v8, v4
	v_div_scale_f32 v8, vcc_lo, 1.0, v5, 1.0
	v_mul_f32_e32 v13, v8, v4
	s_delay_alu instid0(VALU_DEP_1) | instskip(NEXT) | instid1(VALU_DEP_1)
	v_fma_f32 v15, -v0, v13, v8
	v_fmac_f32_e32 v13, v15, v4
	s_delay_alu instid0(VALU_DEP_1) | instskip(SKIP_1) | instid1(VALU_DEP_1)
	v_fma_f32 v0, -v0, v13, v8
	s_wait_alu 0xfffd
	v_div_fmas_f32 v0, v0, v4, v13
	s_delay_alu instid0(VALU_DEP_1)
	v_div_fixup_f32 v0, v0, v5, 1.0
.LBB9_29:
	v_cvt_f32_f16_e32 v15, v51
	v_add_nc_u32_e32 v4, s1, v14
	v_cvt_f32_f16_e32 v16, v52
	v_mov_b32_e32 v14, 0
	v_lshrrev_b32_e32 v5, 16, v51
	v_lshrrev_b32_e32 v8, 16, v52
	v_lshl_add_u32 v13, v4, 7, v27
	s_delay_alu instid0(VALU_DEP_3) | instskip(NEXT) | instid1(VALU_DEP_3)
	v_cvt_f32_f16_e32 v5, v5
	v_cvt_f32_f16_e32 v8, v8
	s_delay_alu instid0(VALU_DEP_3)
	v_lshlrev_b64_e32 v[17:18], 2, v[13:14]
	v_mul_f32_e32 v13, v0, v15
	v_mul_f32_e32 v15, v0, v16
	;; [unrolled: 1-line block ×4, first 2 shown]
	v_add_co_u32 v17, vcc_lo, s48, v17
	s_wait_alu 0xfffd
	v_add_co_ci_u32_e64 v18, null, s49, v18, vcc_lo
	global_store_b128 v[17:18], v[13:16], off
	s_and_saveexec_b32 s2, s0
	s_cbranch_execz .LBB9_31
; %bb.30:
	v_ashrrev_i32_e32 v5, 31, v4
	v_mov_b32_e32 v8, v1
	s_delay_alu instid0(VALU_DEP_2) | instskip(NEXT) | instid1(VALU_DEP_1)
	v_lshlrev_b64_e32 v[13:14], 3, v[4:5]
	v_add_co_u32 v13, vcc_lo, s50, v13
	s_wait_alu 0xfffd
	s_delay_alu instid0(VALU_DEP_2)
	v_add_co_ci_u32_e64 v14, null, s51, v14, vcc_lo
	global_store_b64 v[13:14], v[8:9], off
.LBB9_31:
	s_wait_alu 0xfffe
	s_or_b32 exec_lo, exec_lo, s2
	v_cmp_ne_u32_e32 vcc_lo, 1, v12
	v_mov_b32_e32 v1, 1.0
	s_cbranch_vccnz .LBB9_33
; %bb.32:
	v_div_scale_f32 v0, null, v6, v6, 1.0
	s_delay_alu instid0(VALU_DEP_1) | instskip(NEXT) | instid1(TRANS32_DEP_1)
	v_rcp_f32_e32 v1, v0
	v_fma_f32 v5, -v0, v1, 1.0
	s_delay_alu instid0(VALU_DEP_1) | instskip(SKIP_1) | instid1(VALU_DEP_1)
	v_fmac_f32_e32 v1, v5, v1
	v_div_scale_f32 v5, vcc_lo, 1.0, v6, 1.0
	v_mul_f32_e32 v8, v5, v1
	s_delay_alu instid0(VALU_DEP_1) | instskip(NEXT) | instid1(VALU_DEP_1)
	v_fma_f32 v9, -v0, v8, v5
	v_fmac_f32_e32 v8, v9, v1
	s_delay_alu instid0(VALU_DEP_1) | instskip(SKIP_1) | instid1(VALU_DEP_1)
	v_fma_f32 v0, -v0, v8, v5
	s_wait_alu 0xfffd
	v_div_fmas_f32 v0, v0, v1, v8
	s_delay_alu instid0(VALU_DEP_1)
	v_div_fixup_f32 v1, v0, v6, 1.0
.LBB9_33:
	v_dual_mov_b32 v5, 0 :: v_dual_add_nc_u32 v0, s1, v4
	v_lshrrev_b32_e32 v6, 16, v48
	v_lshrrev_b32_e32 v8, 16, v50
	v_cvt_f32_f16_e32 v9, v48
	s_delay_alu instid0(VALU_DEP_4)
	v_lshl_add_u32 v4, v0, 7, v27
	v_cvt_f32_f16_e32 v14, v50
	v_cvt_f32_f16_e32 v6, v6
	;; [unrolled: 1-line block ×3, first 2 shown]
	v_mul_f32_e32 v13, v1, v9
	v_lshlrev_b64_e32 v[4:5], 2, v[4:5]
	v_mul_f32_e32 v15, v1, v14
	v_mul_f32_e32 v14, v1, v6
	;; [unrolled: 1-line block ×3, first 2 shown]
	s_delay_alu instid0(VALU_DEP_4)
	v_add_co_u32 v4, vcc_lo, s48, v4
	s_wait_alu 0xfffd
	v_add_co_ci_u32_e64 v5, null, s49, v5, vcc_lo
	global_store_b128 v[4:5], v[13:16], off
	s_and_saveexec_b32 s2, s0
	s_cbranch_execz .LBB9_35
; %bb.34:
	v_ashrrev_i32_e32 v1, 31, v0
	v_mov_b32_e32 v9, v2
	s_delay_alu instid0(VALU_DEP_2) | instskip(NEXT) | instid1(VALU_DEP_1)
	v_lshlrev_b64_e32 v[4:5], 3, v[0:1]
	v_add_co_u32 v4, vcc_lo, s50, v4
	s_wait_alu 0xfffd
	s_delay_alu instid0(VALU_DEP_2)
	v_add_co_ci_u32_e64 v5, null, s51, v5, vcc_lo
	global_store_b64 v[4:5], v[9:10], off
.LBB9_35:
	s_wait_alu 0xfffe
	s_or_b32 exec_lo, exec_lo, s2
	v_cmp_ne_u32_e32 vcc_lo, 1, v12
	v_mov_b32_e32 v1, 1.0
	s_cbranch_vccnz .LBB9_37
; %bb.36:
	v_div_scale_f32 v1, null, v7, v7, 1.0
	s_delay_alu instid0(VALU_DEP_1) | instskip(NEXT) | instid1(TRANS32_DEP_1)
	v_rcp_f32_e32 v2, v1
	v_fma_f32 v4, -v1, v2, 1.0
	s_delay_alu instid0(VALU_DEP_1) | instskip(SKIP_1) | instid1(VALU_DEP_1)
	v_fmac_f32_e32 v2, v4, v2
	v_div_scale_f32 v4, vcc_lo, 1.0, v7, 1.0
	v_mul_f32_e32 v5, v4, v2
	s_delay_alu instid0(VALU_DEP_1) | instskip(NEXT) | instid1(VALU_DEP_1)
	v_fma_f32 v6, -v1, v5, v4
	v_fmac_f32_e32 v5, v6, v2
	s_delay_alu instid0(VALU_DEP_1) | instskip(SKIP_1) | instid1(VALU_DEP_1)
	v_fma_f32 v1, -v1, v5, v4
	s_wait_alu 0xfffd
	v_div_fmas_f32 v1, v1, v2, v5
	s_delay_alu instid0(VALU_DEP_1)
	v_div_fixup_f32 v1, v1, v7, 1.0
.LBB9_37:
	v_dual_mov_b32 v5, 0 :: v_dual_add_nc_u32 v0, s1, v0
	v_lshrrev_b32_e32 v2, 16, v49
	v_lshrrev_b32_e32 v6, 16, v47
	v_cvt_f32_f16_e32 v7, v49
	s_delay_alu instid0(VALU_DEP_4) | instskip(SKIP_3) | instid1(VALU_DEP_4)
	v_lshl_add_u32 v4, v0, 7, v27
	v_cvt_f32_f16_e32 v10, v47
	v_cvt_f32_f16_e32 v2, v2
	;; [unrolled: 1-line block ×3, first 2 shown]
	v_lshlrev_b64_e32 v[8:9], 2, v[4:5]
	v_mul_f32_e32 v4, v1, v7
	v_mul_f32_e32 v6, v1, v10
	;; [unrolled: 1-line block ×4, first 2 shown]
	v_add_co_u32 v1, vcc_lo, s48, v8
	s_wait_alu 0xfffd
	v_add_co_ci_u32_e64 v2, null, s49, v9, vcc_lo
	global_store_b128 v[1:2], v[4:7], off
	s_and_b32 exec_lo, exec_lo, s0
	s_cbranch_execz .LBB9_21
; %bb.38:
	v_ashrrev_i32_e32 v1, 31, v0
	v_mov_b32_e32 v10, v3
	s_delay_alu instid0(VALU_DEP_2) | instskip(NEXT) | instid1(VALU_DEP_1)
	v_lshlrev_b64_e32 v[0:1], 3, v[0:1]
	v_add_co_u32 v0, vcc_lo, s50, v0
	s_wait_alu 0xfffd
	s_delay_alu instid0(VALU_DEP_2)
	v_add_co_ci_u32_e64 v1, null, s51, v1, vcc_lo
	global_store_b64 v[0:1], v[10:11], off
	s_nop 0
	s_sendmsg sendmsg(MSG_DEALLOC_VGPRS)
	s_endpgm
	.section	.rodata,"a",@progbits
	.p2align	6, 0x0
	.amdhsa_kernel _ZL15flash_attn_tileILi192ELi128ELi4ELi8ELb0EEvPKcS1_S1_S1_S1_PKiPfP15HIP_vector_typeIfLj2EEffffjfiS5_IjLj3EEiiiiiiiiiiiliiliiiiil
		.amdhsa_group_segment_fixed_size 25600
		.amdhsa_private_segment_fixed_size 0
		.amdhsa_kernarg_size 464
		.amdhsa_user_sgpr_count 2
		.amdhsa_user_sgpr_dispatch_ptr 0
		.amdhsa_user_sgpr_queue_ptr 0
		.amdhsa_user_sgpr_kernarg_segment_ptr 1
		.amdhsa_user_sgpr_dispatch_id 0
		.amdhsa_user_sgpr_private_segment_size 0
		.amdhsa_wavefront_size32 1
		.amdhsa_uses_dynamic_stack 0
		.amdhsa_enable_private_segment 0
		.amdhsa_system_sgpr_workgroup_id_x 1
		.amdhsa_system_sgpr_workgroup_id_y 1
		.amdhsa_system_sgpr_workgroup_id_z 1
		.amdhsa_system_sgpr_workgroup_info 0
		.amdhsa_system_vgpr_workitem_id 1
		.amdhsa_next_free_vgpr 160
		.amdhsa_next_free_sgpr 56
		.amdhsa_reserve_vcc 1
		.amdhsa_float_round_mode_32 0
		.amdhsa_float_round_mode_16_64 0
		.amdhsa_float_denorm_mode_32 3
		.amdhsa_float_denorm_mode_16_64 3
		.amdhsa_fp16_overflow 0
		.amdhsa_workgroup_processor_mode 1
		.amdhsa_memory_ordered 1
		.amdhsa_forward_progress 1
		.amdhsa_inst_pref_size 148
		.amdhsa_round_robin_scheduling 0
		.amdhsa_exception_fp_ieee_invalid_op 0
		.amdhsa_exception_fp_denorm_src 0
		.amdhsa_exception_fp_ieee_div_zero 0
		.amdhsa_exception_fp_ieee_overflow 0
		.amdhsa_exception_fp_ieee_underflow 0
		.amdhsa_exception_fp_ieee_inexact 0
		.amdhsa_exception_int_div_zero 0
	.end_amdhsa_kernel
	.section	.text._ZL15flash_attn_tileILi192ELi128ELi4ELi8ELb0EEvPKcS1_S1_S1_S1_PKiPfP15HIP_vector_typeIfLj2EEffffjfiS5_IjLj3EEiiiiiiiiiiiliiliiiiil,"axG",@progbits,_ZL15flash_attn_tileILi192ELi128ELi4ELi8ELb0EEvPKcS1_S1_S1_S1_PKiPfP15HIP_vector_typeIfLj2EEffffjfiS5_IjLj3EEiiiiiiiiiiiliiliiiiil,comdat
.Lfunc_end9:
	.size	_ZL15flash_attn_tileILi192ELi128ELi4ELi8ELb0EEvPKcS1_S1_S1_S1_PKiPfP15HIP_vector_typeIfLj2EEffffjfiS5_IjLj3EEiiiiiiiiiiiliiliiiiil, .Lfunc_end9-_ZL15flash_attn_tileILi192ELi128ELi4ELi8ELb0EEvPKcS1_S1_S1_S1_PKiPfP15HIP_vector_typeIfLj2EEffffjfiS5_IjLj3EEiiiiiiiiiiiliiliiiiil
                                        ; -- End function
	.set _ZL15flash_attn_tileILi192ELi128ELi4ELi8ELb0EEvPKcS1_S1_S1_S1_PKiPfP15HIP_vector_typeIfLj2EEffffjfiS5_IjLj3EEiiiiiiiiiiiliiliiiiil.num_vgpr, 160
	.set _ZL15flash_attn_tileILi192ELi128ELi4ELi8ELb0EEvPKcS1_S1_S1_S1_PKiPfP15HIP_vector_typeIfLj2EEffffjfiS5_IjLj3EEiiiiiiiiiiiliiliiiiil.num_agpr, 0
	.set _ZL15flash_attn_tileILi192ELi128ELi4ELi8ELb0EEvPKcS1_S1_S1_S1_PKiPfP15HIP_vector_typeIfLj2EEffffjfiS5_IjLj3EEiiiiiiiiiiiliiliiiiil.numbered_sgpr, 56
	.set _ZL15flash_attn_tileILi192ELi128ELi4ELi8ELb0EEvPKcS1_S1_S1_S1_PKiPfP15HIP_vector_typeIfLj2EEffffjfiS5_IjLj3EEiiiiiiiiiiiliiliiiiil.num_named_barrier, 0
	.set _ZL15flash_attn_tileILi192ELi128ELi4ELi8ELb0EEvPKcS1_S1_S1_S1_PKiPfP15HIP_vector_typeIfLj2EEffffjfiS5_IjLj3EEiiiiiiiiiiiliiliiiiil.private_seg_size, 0
	.set _ZL15flash_attn_tileILi192ELi128ELi4ELi8ELb0EEvPKcS1_S1_S1_S1_PKiPfP15HIP_vector_typeIfLj2EEffffjfiS5_IjLj3EEiiiiiiiiiiiliiliiiiil.uses_vcc, 1
	.set _ZL15flash_attn_tileILi192ELi128ELi4ELi8ELb0EEvPKcS1_S1_S1_S1_PKiPfP15HIP_vector_typeIfLj2EEffffjfiS5_IjLj3EEiiiiiiiiiiiliiliiiiil.uses_flat_scratch, 0
	.set _ZL15flash_attn_tileILi192ELi128ELi4ELi8ELb0EEvPKcS1_S1_S1_S1_PKiPfP15HIP_vector_typeIfLj2EEffffjfiS5_IjLj3EEiiiiiiiiiiiliiliiiiil.has_dyn_sized_stack, 0
	.set _ZL15flash_attn_tileILi192ELi128ELi4ELi8ELb0EEvPKcS1_S1_S1_S1_PKiPfP15HIP_vector_typeIfLj2EEffffjfiS5_IjLj3EEiiiiiiiiiiiliiliiiiil.has_recursion, 0
	.set _ZL15flash_attn_tileILi192ELi128ELi4ELi8ELb0EEvPKcS1_S1_S1_S1_PKiPfP15HIP_vector_typeIfLj2EEffffjfiS5_IjLj3EEiiiiiiiiiiiliiliiiiil.has_indirect_call, 0
	.section	.AMDGPU.csdata,"",@progbits
; Kernel info:
; codeLenInByte = 18840
; TotalNumSgprs: 58
; NumVgprs: 160
; ScratchSize: 0
; MemoryBound: 0
; FloatMode: 240
; IeeeMode: 1
; LDSByteSize: 25600 bytes/workgroup (compile time only)
; SGPRBlocks: 0
; VGPRBlocks: 19
; NumSGPRsForWavesPerEU: 58
; NumVGPRsForWavesPerEU: 160
; Occupancy: 9
; WaveLimiterHint : 1
; COMPUTE_PGM_RSRC2:SCRATCH_EN: 0
; COMPUTE_PGM_RSRC2:USER_SGPR: 2
; COMPUTE_PGM_RSRC2:TRAP_HANDLER: 0
; COMPUTE_PGM_RSRC2:TGID_X_EN: 1
; COMPUTE_PGM_RSRC2:TGID_Y_EN: 1
; COMPUTE_PGM_RSRC2:TGID_Z_EN: 1
; COMPUTE_PGM_RSRC2:TIDIG_COMP_CNT: 1
	.section	.text._ZL25flash_attn_mask_to_KV_maxILi4EEvPK7__half2Piiii,"axG",@progbits,_ZL25flash_attn_mask_to_KV_maxILi4EEvPK7__half2Piiii,comdat
	.globl	_ZL25flash_attn_mask_to_KV_maxILi4EEvPK7__half2Piiii ; -- Begin function _ZL25flash_attn_mask_to_KV_maxILi4EEvPK7__half2Piiii
	.p2align	8
	.type	_ZL25flash_attn_mask_to_KV_maxILi4EEvPK7__half2Piiii,@function
_ZL25flash_attn_mask_to_KV_maxILi4EEvPK7__half2Piiii: ; @_ZL25flash_attn_mask_to_KV_maxILi4EEvPK7__half2Piiii
; %bb.0:
	s_load_b64 s[8:9], s[0:1], 0x0
	s_mov_b32 s2, exec_lo
	v_cmpx_gt_u32_e32 32, v0
; %bb.1:
	v_dual_mov_b32 v2, 1 :: v_dual_lshlrev_b32 v1, 2, v0
	ds_store_b32 v1, v2
; %bb.2:
	s_or_b32 exec_lo, exec_lo, s2
	s_clause 0x2
	s_load_b96 s[4:6], s[0:1], 0x10
	s_load_b64 s[2:3], s[0:1], 0x8
	s_load_b32 s1, s[0:1], 0x20
	v_dual_mov_b32 v2, 0 :: v_dual_and_b32 v1, 31, v0
	v_lshrrev_b32_e32 v5, 3, v0
	s_wait_dscnt 0x0
	s_barrier_signal -1
	s_delay_alu instid0(VALU_DEP_2)
	v_lshlrev_b32_e32 v6, 2, v1
	s_barrier_wait -1
	global_inv scope:SCOPE_SE
	s_wait_kmcnt 0x0
	s_mul_i32 s0, ttmp9, s5
	s_mul_i32 s6, s6, ttmp7
	s_lshl_b32 s0, s0, 2
	s_delay_alu instid0(SALU_CYCLE_1) | instskip(SKIP_2) | instid1(SALU_CYCLE_1)
	s_add_co_i32 s6, s6, s0
	v_cmp_eq_u32_e64 s0, 0, v1
	s_ashr_i32 s7, s6, 31
	s_lshl_b64 s[6:7], s[6:7], 2
	s_delay_alu instid0(SALU_CYCLE_1)
	s_add_nc_u64 s[6:7], s[8:9], s[6:7]
	s_lshl_b32 s8, s4, 8
	s_branch .LBB10_4
.LBB10_3:                               ;   in Loop: Header=BB10_4 Depth=1
	s_wait_alu 0xfffe
	s_or_b32 exec_lo, exec_lo, s9
	s_wait_dscnt 0x0
	s_barrier_signal -1
	s_barrier_wait -1
	global_inv scope:SCOPE_SE
	ds_load_b32 v1, v6
	s_wait_loadcnt_dscnt 0x0
	s_barrier_signal -1
	s_barrier_wait -1
	global_inv scope:SCOPE_SE
	v_cmp_ne_u32_e32 vcc_lo, 0, v1
	s_cmp_lg_u32 vcc_lo, exec_lo
	s_cselect_b32 s9, -1, 0
	s_wait_alu 0xfffe
	s_and_b32 vcc_lo, exec_lo, s9
	s_wait_alu 0xfffe
	s_cbranch_vccnz .LBB10_20
.LBB10_4:                               ; =>This Inner Loop Header: Depth=1
	s_mov_b32 s4, s8
	s_addk_co_i32 s8, 0xff00
	s_wait_alu 0xfffe
	s_cmp_lt_i32 s8, 0
	s_cbranch_scc1 .LBB10_19
; %bb.5:                                ;   in Loop: Header=BB10_4 Depth=1
	s_lshr_b32 s9, s8, 1
	s_wait_alu 0xfffe
	v_add_nc_u32_e32 v1, s9, v0
	s_delay_alu instid0(VALU_DEP_1) | instskip(NEXT) | instid1(VALU_DEP_1)
	v_lshlrev_b64_e32 v[3:4], 2, v[1:2]
	v_add_co_u32 v3, vcc_lo, s6, v3
	s_wait_alu 0xfffd
	s_delay_alu instid0(VALU_DEP_2) | instskip(SKIP_4) | instid1(VALU_DEP_2)
	v_add_co_ci_u32_e64 v4, null, s7, v4, vcc_lo
	global_load_b32 v3, v[3:4], off
	s_wait_loadcnt 0x0
	v_lshrrev_b32_e32 v4, 16, v3
	v_cmp_class_f16_e64 s9, v3, 0x204
	v_cmp_class_f16_e64 s10, v4, 0x204
	s_and_b32 s11, s9, s10
	s_mov_b32 s10, 0
	s_wait_alu 0xfffe
	s_and_saveexec_b32 s9, s11
	s_cbranch_execz .LBB10_17
; %bb.6:                                ;   in Loop: Header=BB10_4 Depth=1
	v_add_nc_u32_e32 v3, s5, v1
	s_mov_b32 s11, 0
	s_delay_alu instid0(VALU_DEP_1) | instskip(NEXT) | instid1(VALU_DEP_1)
	v_ashrrev_i32_e32 v4, 31, v3
	v_lshlrev_b64_e32 v[7:8], 2, v[3:4]
	s_delay_alu instid0(VALU_DEP_1) | instskip(SKIP_1) | instid1(VALU_DEP_2)
	v_add_co_u32 v7, vcc_lo, s6, v7
	s_wait_alu 0xfffd
	v_add_co_ci_u32_e64 v8, null, s7, v8, vcc_lo
	global_load_b32 v1, v[7:8], off
	s_wait_loadcnt 0x0
	v_cmp_class_f16_e64 s12, v1, 0x204
	s_and_saveexec_b32 s10, s12
	s_cbranch_execz .LBB10_16
; %bb.7:                                ;   in Loop: Header=BB10_4 Depth=1
	v_lshrrev_b32_e32 v1, 16, v1
	s_mov_b32 s12, 0
	s_delay_alu instid0(VALU_DEP_1)
	v_cmp_class_f16_e64 s13, v1, 0x204
	s_and_saveexec_b32 s11, s13
	s_cbranch_execz .LBB10_15
; %bb.8:                                ;   in Loop: Header=BB10_4 Depth=1
	v_add_nc_u32_e32 v3, s5, v3
	s_mov_b32 s13, 0
	s_delay_alu instid0(VALU_DEP_1) | instskip(NEXT) | instid1(VALU_DEP_1)
	v_ashrrev_i32_e32 v4, 31, v3
	v_lshlrev_b64_e32 v[7:8], 2, v[3:4]
	s_delay_alu instid0(VALU_DEP_1) | instskip(SKIP_1) | instid1(VALU_DEP_2)
	v_add_co_u32 v7, vcc_lo, s6, v7
	s_wait_alu 0xfffd
	v_add_co_ci_u32_e64 v8, null, s7, v8, vcc_lo
	global_load_b32 v1, v[7:8], off
	s_wait_loadcnt 0x0
	v_cmp_class_f16_e64 s14, v1, 0x204
	s_and_saveexec_b32 s12, s14
	s_cbranch_execz .LBB10_14
; %bb.9:                                ;   in Loop: Header=BB10_4 Depth=1
	v_lshrrev_b32_e32 v1, 16, v1
	s_mov_b32 s14, 0
	s_delay_alu instid0(VALU_DEP_1)
	v_cmp_class_f16_e64 s15, v1, 0x204
	s_and_saveexec_b32 s13, s15
	s_cbranch_execz .LBB10_13
; %bb.10:                               ;   in Loop: Header=BB10_4 Depth=1
	v_add_nc_u32_e32 v3, s5, v3
	s_delay_alu instid0(VALU_DEP_1) | instskip(NEXT) | instid1(VALU_DEP_1)
	v_ashrrev_i32_e32 v4, 31, v3
	v_lshlrev_b64_e32 v[3:4], 2, v[3:4]
	s_delay_alu instid0(VALU_DEP_1) | instskip(SKIP_1) | instid1(VALU_DEP_2)
	v_add_co_u32 v3, vcc_lo, s6, v3
	s_wait_alu 0xfffd
	v_add_co_ci_u32_e64 v4, null, s7, v4, vcc_lo
	global_load_b32 v1, v[3:4], off
	s_wait_loadcnt 0x0
	v_cmp_class_f16_e64 s16, v1, 0x204
	s_and_saveexec_b32 s15, s16
; %bb.11:                               ;   in Loop: Header=BB10_4 Depth=1
	v_lshrrev_b32_e32 v1, 16, v1
	s_delay_alu instid0(VALU_DEP_1)
	v_cmp_class_f16_e64 s14, v1, 0x204
	s_and_b32 s14, s14, exec_lo
; %bb.12:                               ;   in Loop: Header=BB10_4 Depth=1
	s_or_b32 exec_lo, exec_lo, s15
	s_delay_alu instid0(SALU_CYCLE_1)
	s_and_b32 s14, s14, exec_lo
.LBB10_13:                              ;   in Loop: Header=BB10_4 Depth=1
	s_or_b32 exec_lo, exec_lo, s13
	s_delay_alu instid0(SALU_CYCLE_1)
	s_and_b32 s13, s14, exec_lo
.LBB10_14:                              ;   in Loop: Header=BB10_4 Depth=1
	s_or_b32 exec_lo, exec_lo, s12
	s_delay_alu instid0(SALU_CYCLE_1)
	s_and_b32 s12, s13, exec_lo
.LBB10_15:                              ;   in Loop: Header=BB10_4 Depth=1
	s_wait_alu 0xfffe
	s_or_b32 exec_lo, exec_lo, s11
	s_delay_alu instid0(SALU_CYCLE_1)
	s_and_b32 s11, s12, exec_lo
.LBB10_16:                              ;   in Loop: Header=BB10_4 Depth=1
	s_wait_alu 0xfffe
	s_or_b32 exec_lo, exec_lo, s10
	s_delay_alu instid0(SALU_CYCLE_1)
	s_and_b32 s10, s11, exec_lo
.LBB10_17:                              ;   in Loop: Header=BB10_4 Depth=1
	s_wait_alu 0xfffe
	s_or_b32 exec_lo, exec_lo, s9
	v_cndmask_b32_e64 v1, 0, 1, s10
	s_mov_b32 s11, exec_lo
	s_delay_alu instid0(VALU_DEP_1)
	v_cmp_ne_u32_e32 vcc_lo, 0, v1
	s_and_saveexec_b32 s9, s0
	s_cbranch_execz .LBB10_3
; %bb.18:                               ;   in Loop: Header=BB10_4 Depth=1
	s_wait_alu 0xfffe
	s_cmp_eq_u32 vcc_lo, s11
	s_cselect_b32 s10, -1, 0
	s_wait_alu 0xfffe
	v_cndmask_b32_e64 v1, 0, 1, s10
	ds_store_b32 v5, v1
	s_branch .LBB10_3
.LBB10_19:                              ;   in Loop: Header=BB10_4 Depth=1
	s_cbranch_execz .LBB10_4
.LBB10_20:
	s_mov_b32 s0, exec_lo
	v_cmpx_eq_u32_e32 0, v0
	s_cbranch_execz .LBB10_22
; %bb.21:
	s_mul_i32 s0, s1, ttmp7
	v_dual_mov_b32 v0, 0 :: v_dual_mov_b32 v1, s4
	s_add_co_i32 s0, s0, ttmp9
	s_delay_alu instid0(SALU_CYCLE_1) | instskip(NEXT) | instid1(SALU_CYCLE_1)
	s_ashr_i32 s1, s0, 31
	s_lshl_b64 s[0:1], s[0:1], 2
	s_delay_alu instid0(SALU_CYCLE_1)
	s_add_nc_u64 s[0:1], s[2:3], s[0:1]
	global_store_b32 v0, v1, s[0:1]
.LBB10_22:
	s_endpgm
	.section	.rodata,"a",@progbits
	.p2align	6, 0x0
	.amdhsa_kernel _ZL25flash_attn_mask_to_KV_maxILi4EEvPK7__half2Piiii
		.amdhsa_group_segment_fixed_size 128
		.amdhsa_private_segment_fixed_size 0
		.amdhsa_kernarg_size 288
		.amdhsa_user_sgpr_count 2
		.amdhsa_user_sgpr_dispatch_ptr 0
		.amdhsa_user_sgpr_queue_ptr 0
		.amdhsa_user_sgpr_kernarg_segment_ptr 1
		.amdhsa_user_sgpr_dispatch_id 0
		.amdhsa_user_sgpr_private_segment_size 0
		.amdhsa_wavefront_size32 1
		.amdhsa_uses_dynamic_stack 0
		.amdhsa_enable_private_segment 0
		.amdhsa_system_sgpr_workgroup_id_x 1
		.amdhsa_system_sgpr_workgroup_id_y 1
		.amdhsa_system_sgpr_workgroup_id_z 0
		.amdhsa_system_sgpr_workgroup_info 0
		.amdhsa_system_vgpr_workitem_id 0
		.amdhsa_next_free_vgpr 9
		.amdhsa_next_free_sgpr 17
		.amdhsa_reserve_vcc 1
		.amdhsa_float_round_mode_32 0
		.amdhsa_float_round_mode_16_64 0
		.amdhsa_float_denorm_mode_32 3
		.amdhsa_float_denorm_mode_16_64 3
		.amdhsa_fp16_overflow 0
		.amdhsa_workgroup_processor_mode 1
		.amdhsa_memory_ordered 1
		.amdhsa_forward_progress 1
		.amdhsa_inst_pref_size 8
		.amdhsa_round_robin_scheduling 0
		.amdhsa_exception_fp_ieee_invalid_op 0
		.amdhsa_exception_fp_denorm_src 0
		.amdhsa_exception_fp_ieee_div_zero 0
		.amdhsa_exception_fp_ieee_overflow 0
		.amdhsa_exception_fp_ieee_underflow 0
		.amdhsa_exception_fp_ieee_inexact 0
		.amdhsa_exception_int_div_zero 0
	.end_amdhsa_kernel
	.section	.text._ZL25flash_attn_mask_to_KV_maxILi4EEvPK7__half2Piiii,"axG",@progbits,_ZL25flash_attn_mask_to_KV_maxILi4EEvPK7__half2Piiii,comdat
.Lfunc_end10:
	.size	_ZL25flash_attn_mask_to_KV_maxILi4EEvPK7__half2Piiii, .Lfunc_end10-_ZL25flash_attn_mask_to_KV_maxILi4EEvPK7__half2Piiii
                                        ; -- End function
	.set _ZL25flash_attn_mask_to_KV_maxILi4EEvPK7__half2Piiii.num_vgpr, 9
	.set _ZL25flash_attn_mask_to_KV_maxILi4EEvPK7__half2Piiii.num_agpr, 0
	.set _ZL25flash_attn_mask_to_KV_maxILi4EEvPK7__half2Piiii.numbered_sgpr, 17
	.set _ZL25flash_attn_mask_to_KV_maxILi4EEvPK7__half2Piiii.num_named_barrier, 0
	.set _ZL25flash_attn_mask_to_KV_maxILi4EEvPK7__half2Piiii.private_seg_size, 0
	.set _ZL25flash_attn_mask_to_KV_maxILi4EEvPK7__half2Piiii.uses_vcc, 1
	.set _ZL25flash_attn_mask_to_KV_maxILi4EEvPK7__half2Piiii.uses_flat_scratch, 0
	.set _ZL25flash_attn_mask_to_KV_maxILi4EEvPK7__half2Piiii.has_dyn_sized_stack, 0
	.set _ZL25flash_attn_mask_to_KV_maxILi4EEvPK7__half2Piiii.has_recursion, 0
	.set _ZL25flash_attn_mask_to_KV_maxILi4EEvPK7__half2Piiii.has_indirect_call, 0
	.section	.AMDGPU.csdata,"",@progbits
; Kernel info:
; codeLenInByte = 912
; TotalNumSgprs: 19
; NumVgprs: 9
; ScratchSize: 0
; MemoryBound: 0
; FloatMode: 240
; IeeeMode: 1
; LDSByteSize: 128 bytes/workgroup (compile time only)
; SGPRBlocks: 0
; VGPRBlocks: 1
; NumSGPRsForWavesPerEU: 19
; NumVGPRsForWavesPerEU: 9
; Occupancy: 16
; WaveLimiterHint : 0
; COMPUTE_PGM_RSRC2:SCRATCH_EN: 0
; COMPUTE_PGM_RSRC2:USER_SGPR: 2
; COMPUTE_PGM_RSRC2:TRAP_HANDLER: 0
; COMPUTE_PGM_RSRC2:TGID_X_EN: 1
; COMPUTE_PGM_RSRC2:TGID_Y_EN: 1
; COMPUTE_PGM_RSRC2:TGID_Z_EN: 0
; COMPUTE_PGM_RSRC2:TIDIG_COMP_CNT: 0
	.section	.text._ZL33flash_attn_stream_k_fixup_uniformILi128ELi4ELi8EEvPfPK15HIP_vector_typeIfLj2EEiiiiiiS1_IjLj3EES5_S5_,"axG",@progbits,_ZL33flash_attn_stream_k_fixup_uniformILi128ELi4ELi8EEvPfPK15HIP_vector_typeIfLj2EEiiiiiiS1_IjLj3EES5_S5_,comdat
	.globl	_ZL33flash_attn_stream_k_fixup_uniformILi128ELi4ELi8EEvPfPK15HIP_vector_typeIfLj2EEiiiiiiS1_IjLj3EES5_S5_ ; -- Begin function _ZL33flash_attn_stream_k_fixup_uniformILi128ELi4ELi8EEvPfPK15HIP_vector_typeIfLj2EEiiiiiiS1_IjLj3EES5_S5_
	.p2align	8
	.type	_ZL33flash_attn_stream_k_fixup_uniformILi128ELi4ELi8EEvPfPK15HIP_vector_typeIfLj2EEiiiiiiS1_IjLj3EES5_S5_,@function
_ZL33flash_attn_stream_k_fixup_uniformILi128ELi4ELi8EEvPfPK15HIP_vector_typeIfLj2EEiiiiiiS1_IjLj3EES5_S5_: ; @_ZL33flash_attn_stream_k_fixup_uniformILi128ELi4ELi8EEvPfPK15HIP_vector_typeIfLj2EEiiiiiiS1_IjLj3EES5_S5_
; %bb.0:
	s_clause 0x1
	s_load_b256 s[4:11], s[0:1], 0x1c
	s_load_b128 s[12:15], s[0:1], 0x3c
	s_wait_kmcnt 0x0
	s_mul_hi_u32 s2, s7, ttmp9
	s_delay_alu instid0(SALU_CYCLE_1) | instskip(NEXT) | instid1(SALU_CYCLE_1)
	s_add_co_i32 s2, ttmp9, s2
	s_lshr_b32 s2, s2, s8
	s_delay_alu instid0(SALU_CYCLE_1) | instskip(SKIP_2) | instid1(SALU_CYCLE_1)
	s_mul_i32 s3, s2, s9
	s_load_b64 s[8:9], s[0:1], 0x10
	s_sub_co_i32 s7, ttmp9, s3
	s_mul_hi_u32 s3, s7, s10
	s_delay_alu instid0(SALU_CYCLE_1) | instskip(NEXT) | instid1(SALU_CYCLE_1)
	s_add_co_i32 s3, s7, s3
	s_lshr_b32 s3, s3, s11
	s_delay_alu instid0(SALU_CYCLE_1) | instskip(NEXT) | instid1(SALU_CYCLE_1)
	s_mul_i32 s10, s3, s12
	s_sub_co_i32 s7, s7, s10
	s_delay_alu instid0(SALU_CYCLE_1) | instskip(NEXT) | instid1(SALU_CYCLE_1)
	s_mul_hi_u32 s10, s7, s13
	s_add_co_i32 s10, s7, s10
	s_delay_alu instid0(SALU_CYCLE_1) | instskip(NEXT) | instid1(SALU_CYCLE_1)
	s_lshr_b32 s12, s10, s14
	s_mul_i32 s10, s12, s15
	s_lshl_b32 s12, s12, 3
	s_sub_co_i32 s11, s7, s10
	s_and_b32 s7, ttmp7, 0xffff
	s_lshl_b32 s13, s11, 2
	s_lshr_b32 s10, ttmp7, 16
	s_add_co_i32 s13, s13, s7
	s_wait_kmcnt 0x0
	s_cmp_lt_i32 s13, s8
	s_cselect_b32 s13, -1, 0
	s_add_co_i32 s14, s12, s10
	s_delay_alu instid0(SALU_CYCLE_1) | instskip(SKIP_1) | instid1(SALU_CYCLE_1)
	s_cmp_lt_i32 s14, s5
	s_cselect_b32 s14, -1, 0
	s_and_b32 s13, s13, s14
	s_delay_alu instid0(SALU_CYCLE_1)
	s_and_not1_b32 vcc_lo, exec_lo, s13
	s_cbranch_vccnz .LBB11_6
; %bb.1:
	s_mul_i32 s2, s2, s8
	s_mul_i32 s5, s3, s5
	s_add_co_i32 s2, s2, s7
	s_delay_alu instid0(SALU_CYCLE_1) | instskip(NEXT) | instid1(SALU_CYCLE_1)
	s_mul_i32 s2, s2, s9
	s_add_co_i32 s8, s2, s10
	s_load_b128 s[0:3], s[0:1], 0x0
	s_add_co_i32 s5, s8, s5
	s_mul_i32 s8, s9, s11
	s_add_co_i32 s5, s5, s12
	s_lshl_b32 s8, s8, 9
	s_lshl_b32 s5, s5, 7
	s_delay_alu instid0(SALU_CYCLE_1)
	s_add_co_i32 s8, s8, s5
	s_lshl_b32 s5, s7, 3
	v_or_b32_e32 v1, s8, v0
	s_mul_i32 s8, s6, ttmp9
	s_wait_alu 0xfffe
	s_add_co_i32 s9, s8, s6
	s_wait_alu 0xfffe
	s_add_co_i32 s12, s9, -2
	v_ashrrev_i32_e32 v2, 31, v1
	s_delay_alu instid0(VALU_DEP_1) | instskip(SKIP_1) | instid1(VALU_DEP_1)
	v_lshlrev_b64_e32 v[1:2], 2, v[1:2]
	s_wait_kmcnt 0x0
	v_add_co_u32 v1, vcc_lo, s0, v1
	s_delay_alu instid0(VALU_DEP_1)
	v_add_co_ci_u32_e64 v2, null, s1, v2, vcc_lo
	s_add_co_i32 s0, s5, s10
	s_lshl_b32 s1, s9, 5
	global_load_b32 v5, v[1:2], off
	s_wait_alu 0xfffe
	s_add_co_i32 s0, s0, s1
	s_wait_alu 0xfffe
	s_sub_co_i32 s0, s0, 32
	s_wait_alu 0xfffe
	s_ashr_i32 s1, s0, 31
	s_wait_alu 0xfffe
	s_lshl_b64 s[0:1], s[0:1], 3
	s_cmp_lt_i32 s12, s8
	s_wait_alu 0xfffe
	s_add_nc_u64 s[0:1], s[2:3], s[0:1]
	s_load_b32 s11, s[0:1], 0x4
	s_cbranch_scc1 .LBB11_4
; %bb.2:
	s_load_b32 s0, s[0:1], 0x0
	s_add_co_i32 s13, ttmp9, 1
	s_lshl_b32 s12, s4, 7
	s_mul_i32 s1, s6, s13
	s_lshl_b32 s6, s7, 10
	s_lshl_b32 s7, s10, 7
	s_wait_alu 0xfffe
	s_lshl_b32 s14, s1, 12
	s_add_co_i32 s6, s7, s6
	s_lshl_b32 s1, s1, 5
	s_add_co_i32 s14, s6, s14
	s_wait_alu 0xfffe
	s_add_co_i32 s1, s10, s1
	v_or_b32_e32 v0, s14, v0
	s_lshl_b32 s4, s4, 5
	s_ashr_i32 s13, s12, 31
	s_wait_alu 0xfffe
	s_add_co_i32 s1, s1, s4
	s_wait_kmcnt 0x0
	v_dual_mov_b32 v6, s11 :: v_dual_add_nc_u32 v3, 0xffffe000, v0
	s_lshl_b64 s[6:7], s[12:13], 2
	s_wait_alu 0xfffe
	s_add_co_i32 s4, s1, s5
	s_add_nc_u64 s[6:7], s[2:3], s[6:7]
	s_add_co_i32 s1, s9, -1
	s_sub_co_i32 s4, s4, 64
.LBB11_3:                               ; =>This Inner Loop Header: Depth=1
	v_ashrrev_i32_e32 v4, 31, v3
	s_ashr_i32 s5, s4, 31
	v_mov_b32_e32 v10, v6
	s_lshl_b64 s[10:11], s[4:5], 3
	s_wait_loadcnt 0x0
	v_mov_b32_e32 v9, v5
	v_lshlrev_b64_e32 v[7:8], 2, v[3:4]
	s_wait_alu 0xfffe
	s_add_nc_u64 s[10:11], s[2:3], s[10:11]
	v_max_num_f32_e64 v4, s0, s0
	s_load_b64 s[10:11], s[10:11], 0x0
	v_add_nc_u32_e32 v3, 0xfffff000, v3
	v_add_co_u32 v7, vcc_lo, s6, v7
	s_wait_alu 0xfffd
	v_add_co_ci_u32_e64 v8, null, s7, v8, vcc_lo
	v_readfirstlane_b32 s5, v4
	global_load_b32 v0, v[7:8], off
	s_wait_kmcnt 0x0
	v_max_num_f32_e64 v4, s10, s10
	s_delay_alu instid0(VALU_DEP_1) | instskip(SKIP_1) | instid1(SALU_CYCLE_3)
	v_readfirstlane_b32 s9, v4
	s_max_num_f32 s5, s5, s9
	s_sub_f32 s0, s0, s5
	s_sub_f32 s9, s10, s5
	s_wait_alu 0xfffe
	s_delay_alu instid0(SALU_CYCLE_1) | instskip(NEXT) | instid1(SALU_CYCLE_1)
	s_mul_f32 s10, s0, 0x3fb8aa3b
	s_mul_f32 s12, s9, 0x3fb8aa3b
	s_wait_alu 0xfffe
	s_delay_alu instid0(SALU_CYCLE_1)
	s_xor_b32 s13, s10, 0x80000000
	s_rndne_f32 s14, s10
	s_fmamk_f32 s13, s0, 0x3fb8aa3b, s13
	s_cmp_nlt_f32 s0, 0xc2ce8ed0
	s_rndne_f32 s15, s12
	s_wait_alu 0xfffe
	s_sub_f32 s10, s10, s14
	s_fmamk_f32 s13, s0, 0x32a5705f, s13
	s_cvt_i32_f32 s14, s14
	s_cselect_b32 vcc_lo, -1, 0
	s_cmp_ngt_f32 s0, 0x42b17218
	s_wait_alu 0xfffe
	s_add_f32 s10, s10, s13
	s_sub_f32 s13, s12, s15
	s_wait_alu 0xfffe
	s_delay_alu instid0(SALU_CYCLE_1) | instskip(SKIP_1) | instid1(TRANS32_DEP_1)
	v_s_exp_f32 s10, s10
	s_wait_alu 0xf1ff
	v_ldexp_f32 v4, s10, s14
	s_cvt_i32_f32 s10, s15
	s_delay_alu instid0(VALU_DEP_1) | instskip(SKIP_3) | instid1(VALU_DEP_1)
	v_cndmask_b32_e32 v4, 0, v4, vcc_lo
	s_cselect_b32 vcc_lo, -1, 0
	s_cmp_ge_f32 s0, 0xc1a00000
	s_wait_alu 0xfffe
	v_cndmask_b32_e32 v4, 0x7f800000, v4, vcc_lo
	s_cselect_b32 vcc_lo, -1, 0
	s_xor_b32 s0, s12, 0x80000000
	s_cmp_nlt_f32 s9, 0xc2ce8ed0
	s_wait_alu 0xfffe
	s_fmamk_f32 s0, s9, 0x3fb8aa3b, s0
	s_wait_alu 0xfffe
	s_delay_alu instid0(SALU_CYCLE_2) | instskip(SKIP_1) | instid1(SALU_CYCLE_2)
	s_fmamk_f32 s0, s9, 0x32a5705f, s0
	s_wait_alu 0xfffe
	s_add_f32 s0, s13, s0
	s_wait_alu 0xfffe
	s_delay_alu instid0(SALU_CYCLE_2) | instskip(SKIP_1) | instid1(TRANS32_DEP_1)
	v_s_exp_f32 s0, s0
	s_wait_alu 0xf1ff
	v_ldexp_f32 v7, s0, s10
	s_cselect_b32 s0, -1, 0
	s_cmp_ngt_f32 s9, 0x42b17218
	s_wait_alu 0xfffe
	s_delay_alu instid0(VALU_DEP_1) | instskip(SKIP_3) | instid1(VALU_DEP_1)
	v_cndmask_b32_e64 v7, 0, v7, s0
	s_cselect_b32 s0, -1, 0
	s_cmp_ge_f32 s9, 0xc1a00000
	s_wait_alu 0xfffe
	v_cndmask_b32_e64 v7, 0x7f800000, v7, s0
	s_cselect_b32 s0, -1, 0
	s_add_co_i32 s1, s1, -1
	s_sub_co_i32 s4, s4, 32
	s_wait_alu 0xfffe
	s_cmp_le_i32 s1, s8
	v_cndmask_b32_e64 v7, 0, v7, s0
	s_mov_b32 s0, s5
	s_wait_loadcnt 0x0
	s_delay_alu instid0(VALU_DEP_1) | instskip(NEXT) | instid1(VALU_DEP_1)
	v_dual_mul_f32 v5, v0, v7 :: v_dual_cndmask_b32 v4, 0, v4
	v_dual_mul_f32 v8, s11, v7 :: v_dual_fmac_f32 v5, v9, v4
	s_delay_alu instid0(VALU_DEP_1) | instskip(NEXT) | instid1(VALU_DEP_1)
	v_mov_b32_e32 v6, v8
	v_fmac_f32_e32 v6, v10, v4
	s_cbranch_scc0 .LBB11_3
	s_branch .LBB11_5
.LBB11_4:
	s_wait_kmcnt 0x0
	v_mov_b32_e32 v6, s11
.LBB11_5:
	s_wait_loadcnt 0x0
	s_delay_alu instid0(VALU_DEP_1) | instskip(NEXT) | instid1(VALU_DEP_1)
	v_div_scale_f32 v0, null, v6, v6, v5
	v_rcp_f32_e32 v3, v0
	s_delay_alu instid0(TRANS32_DEP_1) | instskip(NEXT) | instid1(VALU_DEP_1)
	v_fma_f32 v4, -v0, v3, 1.0
	v_fmac_f32_e32 v3, v4, v3
	v_div_scale_f32 v4, vcc_lo, v5, v6, v5
	s_delay_alu instid0(VALU_DEP_1) | instskip(NEXT) | instid1(VALU_DEP_1)
	v_mul_f32_e32 v7, v4, v3
	v_fma_f32 v8, -v0, v7, v4
	s_delay_alu instid0(VALU_DEP_1) | instskip(NEXT) | instid1(VALU_DEP_1)
	v_fmac_f32_e32 v7, v8, v3
	v_fma_f32 v0, -v0, v7, v4
	s_wait_alu 0xfffd
	s_delay_alu instid0(VALU_DEP_1) | instskip(NEXT) | instid1(VALU_DEP_1)
	v_div_fmas_f32 v0, v0, v3, v7
	v_div_fixup_f32 v0, v0, v6, v5
	global_store_b32 v[1:2], v0, off
.LBB11_6:
	s_endpgm
	.section	.rodata,"a",@progbits
	.p2align	6, 0x0
	.amdhsa_kernel _ZL33flash_attn_stream_k_fixup_uniformILi128ELi4ELi8EEvPfPK15HIP_vector_typeIfLj2EEiiiiiiS1_IjLj3EES5_S5_
		.amdhsa_group_segment_fixed_size 0
		.amdhsa_private_segment_fixed_size 0
		.amdhsa_kernarg_size 76
		.amdhsa_user_sgpr_count 2
		.amdhsa_user_sgpr_dispatch_ptr 0
		.amdhsa_user_sgpr_queue_ptr 0
		.amdhsa_user_sgpr_kernarg_segment_ptr 1
		.amdhsa_user_sgpr_dispatch_id 0
		.amdhsa_user_sgpr_private_segment_size 0
		.amdhsa_wavefront_size32 1
		.amdhsa_uses_dynamic_stack 0
		.amdhsa_enable_private_segment 0
		.amdhsa_system_sgpr_workgroup_id_x 1
		.amdhsa_system_sgpr_workgroup_id_y 1
		.amdhsa_system_sgpr_workgroup_id_z 1
		.amdhsa_system_sgpr_workgroup_info 0
		.amdhsa_system_vgpr_workitem_id 0
		.amdhsa_next_free_vgpr 11
		.amdhsa_next_free_sgpr 16
		.amdhsa_reserve_vcc 1
		.amdhsa_float_round_mode_32 0
		.amdhsa_float_round_mode_16_64 0
		.amdhsa_float_denorm_mode_32 3
		.amdhsa_float_denorm_mode_16_64 3
		.amdhsa_fp16_overflow 0
		.amdhsa_workgroup_processor_mode 1
		.amdhsa_memory_ordered 1
		.amdhsa_forward_progress 1
		.amdhsa_inst_pref_size 9
		.amdhsa_round_robin_scheduling 0
		.amdhsa_exception_fp_ieee_invalid_op 0
		.amdhsa_exception_fp_denorm_src 0
		.amdhsa_exception_fp_ieee_div_zero 0
		.amdhsa_exception_fp_ieee_overflow 0
		.amdhsa_exception_fp_ieee_underflow 0
		.amdhsa_exception_fp_ieee_inexact 0
		.amdhsa_exception_int_div_zero 0
	.end_amdhsa_kernel
	.section	.text._ZL33flash_attn_stream_k_fixup_uniformILi128ELi4ELi8EEvPfPK15HIP_vector_typeIfLj2EEiiiiiiS1_IjLj3EES5_S5_,"axG",@progbits,_ZL33flash_attn_stream_k_fixup_uniformILi128ELi4ELi8EEvPfPK15HIP_vector_typeIfLj2EEiiiiiiS1_IjLj3EES5_S5_,comdat
.Lfunc_end11:
	.size	_ZL33flash_attn_stream_k_fixup_uniformILi128ELi4ELi8EEvPfPK15HIP_vector_typeIfLj2EEiiiiiiS1_IjLj3EES5_S5_, .Lfunc_end11-_ZL33flash_attn_stream_k_fixup_uniformILi128ELi4ELi8EEvPfPK15HIP_vector_typeIfLj2EEiiiiiiS1_IjLj3EES5_S5_
                                        ; -- End function
	.set _ZL33flash_attn_stream_k_fixup_uniformILi128ELi4ELi8EEvPfPK15HIP_vector_typeIfLj2EEiiiiiiS1_IjLj3EES5_S5_.num_vgpr, 11
	.set _ZL33flash_attn_stream_k_fixup_uniformILi128ELi4ELi8EEvPfPK15HIP_vector_typeIfLj2EEiiiiiiS1_IjLj3EES5_S5_.num_agpr, 0
	.set _ZL33flash_attn_stream_k_fixup_uniformILi128ELi4ELi8EEvPfPK15HIP_vector_typeIfLj2EEiiiiiiS1_IjLj3EES5_S5_.numbered_sgpr, 16
	.set _ZL33flash_attn_stream_k_fixup_uniformILi128ELi4ELi8EEvPfPK15HIP_vector_typeIfLj2EEiiiiiiS1_IjLj3EES5_S5_.num_named_barrier, 0
	.set _ZL33flash_attn_stream_k_fixup_uniformILi128ELi4ELi8EEvPfPK15HIP_vector_typeIfLj2EEiiiiiiS1_IjLj3EES5_S5_.private_seg_size, 0
	.set _ZL33flash_attn_stream_k_fixup_uniformILi128ELi4ELi8EEvPfPK15HIP_vector_typeIfLj2EEiiiiiiS1_IjLj3EES5_S5_.uses_vcc, 1
	.set _ZL33flash_attn_stream_k_fixup_uniformILi128ELi4ELi8EEvPfPK15HIP_vector_typeIfLj2EEiiiiiiS1_IjLj3EES5_S5_.uses_flat_scratch, 0
	.set _ZL33flash_attn_stream_k_fixup_uniformILi128ELi4ELi8EEvPfPK15HIP_vector_typeIfLj2EEiiiiiiS1_IjLj3EES5_S5_.has_dyn_sized_stack, 0
	.set _ZL33flash_attn_stream_k_fixup_uniformILi128ELi4ELi8EEvPfPK15HIP_vector_typeIfLj2EEiiiiiiS1_IjLj3EES5_S5_.has_recursion, 0
	.set _ZL33flash_attn_stream_k_fixup_uniformILi128ELi4ELi8EEvPfPK15HIP_vector_typeIfLj2EEiiiiiiS1_IjLj3EES5_S5_.has_indirect_call, 0
	.section	.AMDGPU.csdata,"",@progbits
; Kernel info:
; codeLenInByte = 1140
; TotalNumSgprs: 18
; NumVgprs: 11
; ScratchSize: 0
; MemoryBound: 0
; FloatMode: 240
; IeeeMode: 1
; LDSByteSize: 0 bytes/workgroup (compile time only)
; SGPRBlocks: 0
; VGPRBlocks: 1
; NumSGPRsForWavesPerEU: 18
; NumVGPRsForWavesPerEU: 11
; Occupancy: 16
; WaveLimiterHint : 0
; COMPUTE_PGM_RSRC2:SCRATCH_EN: 0
; COMPUTE_PGM_RSRC2:USER_SGPR: 2
; COMPUTE_PGM_RSRC2:TRAP_HANDLER: 0
; COMPUTE_PGM_RSRC2:TGID_X_EN: 1
; COMPUTE_PGM_RSRC2:TGID_Y_EN: 1
; COMPUTE_PGM_RSRC2:TGID_Z_EN: 1
; COMPUTE_PGM_RSRC2:TIDIG_COMP_CNT: 0
	.section	.text._ZL33flash_attn_stream_k_fixup_generalILi128ELi4ELi8EEvPfPK15HIP_vector_typeIfLj2EEiiiiS1_IjLj3EES5_S5_S5_,"axG",@progbits,_ZL33flash_attn_stream_k_fixup_generalILi128ELi4ELi8EEvPfPK15HIP_vector_typeIfLj2EEiiiiS1_IjLj3EES5_S5_S5_,comdat
	.globl	_ZL33flash_attn_stream_k_fixup_generalILi128ELi4ELi8EEvPfPK15HIP_vector_typeIfLj2EEiiiiS1_IjLj3EES5_S5_S5_ ; -- Begin function _ZL33flash_attn_stream_k_fixup_generalILi128ELi4ELi8EEvPfPK15HIP_vector_typeIfLj2EEiiiiS1_IjLj3EES5_S5_S5_
	.p2align	8
	.type	_ZL33flash_attn_stream_k_fixup_generalILi128ELi4ELi8EEvPfPK15HIP_vector_typeIfLj2EEiiiiS1_IjLj3EES5_S5_S5_,@function
_ZL33flash_attn_stream_k_fixup_generalILi128ELi4ELi8EEvPfPK15HIP_vector_typeIfLj2EEiiiiS1_IjLj3EES5_S5_S5_: ; @_ZL33flash_attn_stream_k_fixup_generalILi128ELi4ELi8EEvPfPK15HIP_vector_typeIfLj2EEiiiiS1_IjLj3EES5_S5_S5_
; %bb.0:
	s_clause 0x1
	s_load_b128 s[4:7], s[0:1], 0x10
	s_load_b32 s16, s[0:1], 0x50
	s_mov_b32 s2, ttmp9
	s_ashr_i32 s3, ttmp9, 31
	s_mov_b32 s17, 0
	s_delay_alu instid0(SALU_CYCLE_1) | instskip(SKIP_3) | instid1(SALU_CYCLE_1)
	s_mov_b32 s8, s17
	s_wait_kmcnt 0x0
	s_ashr_i32 s19, s7, 31
	s_mov_b32 s18, s7
	s_mul_u64 s[2:3], s[18:19], s[2:3]
	s_delay_alu instid0(SALU_CYCLE_1) | instskip(NEXT) | instid1(SALU_CYCLE_1)
	s_mov_b32 s9, s3
	s_cmp_lg_u64 s[8:9], 0
	s_cbranch_scc0 .LBB12_21
; %bb.1:
	s_add_nc_u64 s[8:9], s[16:17], 0
	s_mov_b32 s15, s17
	s_xor_b64 s[8:9], s[8:9], 0
	s_mov_b32 s23, s17
	s_cvt_f32_u32 s7, s8
	s_cvt_f32_u32 s10, s9
	s_sub_nc_u64 s[12:13], 0, s[8:9]
	s_delay_alu instid0(SALU_CYCLE_2) | instskip(NEXT) | instid1(SALU_CYCLE_3)
	s_fmamk_f32 s7, s10, 0x4f800000, s7
	v_s_rcp_f32 s7, s7
	s_delay_alu instid0(TRANS32_DEP_1) | instskip(SKIP_1) | instid1(SALU_CYCLE_2)
	s_mul_f32 s7, s7, 0x5f7ffffc
	s_wait_alu 0xfffe
	s_mul_f32 s10, s7, 0x2f800000
	s_delay_alu instid0(SALU_CYCLE_3) | instskip(NEXT) | instid1(SALU_CYCLE_3)
	s_trunc_f32 s10, s10
	s_fmamk_f32 s7, s10, 0xcf800000, s7
	s_cvt_u32_f32 s11, s10
	s_wait_alu 0xfffe
	s_delay_alu instid0(SALU_CYCLE_1) | instskip(NEXT) | instid1(SALU_CYCLE_3)
	s_cvt_u32_f32 s10, s7
	s_mul_u64 s[20:21], s[12:13], s[10:11]
	s_delay_alu instid0(SALU_CYCLE_1)
	s_mul_hi_u32 s25, s10, s21
	s_mul_i32 s24, s10, s21
	s_mul_hi_u32 s14, s10, s20
	s_mul_i32 s22, s11, s20
	s_add_nc_u64 s[14:15], s[14:15], s[24:25]
	s_mul_hi_u32 s7, s11, s20
	s_mul_hi_u32 s26, s11, s21
	s_add_co_u32 s14, s14, s22
	s_wait_alu 0xfffe
	s_add_co_ci_u32 s22, s15, s7
	s_mul_i32 s20, s11, s21
	s_add_co_ci_u32 s21, s26, 0
	s_delay_alu instid0(SALU_CYCLE_1)
	s_add_nc_u64 s[14:15], s[22:23], s[20:21]
	s_mov_b32 s21, s17
	s_add_co_u32 s10, s10, s14
	s_cselect_b32 s7, -1, 0
	s_wait_alu 0xfffe
	s_cmp_lg_u32 s7, 0
	s_add_co_ci_u32 s11, s11, s15
	s_mov_b32 s15, s17
	s_mul_u64 s[12:13], s[12:13], s[10:11]
	s_delay_alu instid0(SALU_CYCLE_1)
	s_mul_hi_u32 s23, s10, s13
	s_mul_i32 s22, s10, s13
	s_mul_hi_u32 s14, s10, s12
	s_mul_i32 s20, s11, s12
	s_add_nc_u64 s[14:15], s[14:15], s[22:23]
	s_mul_hi_u32 s7, s11, s12
	s_mul_hi_u32 s24, s11, s13
	s_mul_i32 s12, s11, s13
	s_add_co_u32 s13, s14, s20
	s_wait_alu 0xfffe
	s_add_co_ci_u32 s20, s15, s7
	s_add_co_ci_u32 s13, s24, 0
	s_mov_b32 s15, s17
	s_add_nc_u64 s[12:13], s[20:21], s[12:13]
	s_delay_alu instid0(SALU_CYCLE_1) | instskip(SKIP_1) | instid1(SALU_CYCLE_1)
	s_add_co_u32 s7, s10, s12
	s_cselect_b32 s10, -1, 0
	s_cmp_lg_u32 s10, 0
	s_add_co_ci_u32 s20, s11, s13
	s_ashr_i32 s10, s3, 31
	s_delay_alu instid0(SALU_CYCLE_1) | instskip(NEXT) | instid1(SALU_CYCLE_1)
	s_mov_b32 s11, s10
	s_add_nc_u64 s[12:13], s[2:3], s[10:11]
	s_delay_alu instid0(SALU_CYCLE_1) | instskip(NEXT) | instid1(SALU_CYCLE_1)
	s_xor_b64 s[12:13], s[12:13], s[10:11]
	s_mul_hi_u32 s23, s12, s20
	s_mul_i32 s22, s12, s20
	s_wait_alu 0xfffe
	s_mul_hi_u32 s14, s12, s7
	s_mul_hi_u32 s24, s13, s7
	s_mul_i32 s7, s13, s7
	s_add_nc_u64 s[14:15], s[14:15], s[22:23]
	s_mul_hi_u32 s3, s13, s20
	s_wait_alu 0xfffe
	s_add_co_u32 s7, s14, s7
	s_mul_i32 s22, s13, s20
	s_add_co_ci_u32 s20, s15, s24
	s_add_co_ci_u32 s23, s3, 0
	s_delay_alu instid0(SALU_CYCLE_1) | instskip(NEXT) | instid1(SALU_CYCLE_1)
	s_add_nc_u64 s[14:15], s[20:21], s[22:23]
	s_mul_u64 s[20:21], s[8:9], s[14:15]
	s_delay_alu instid0(SALU_CYCLE_1)
	s_sub_co_u32 s3, s12, s20
	s_cselect_b32 s7, -1, 0
	s_sub_co_i32 s12, s13, s21
	s_wait_alu 0xfffe
	s_cmp_lg_u32 s7, 0
	s_sub_co_ci_u32 s12, s12, s9
	s_sub_co_u32 s20, s3, s8
	s_cselect_b32 s22, -1, 0
	s_delay_alu instid0(SALU_CYCLE_1) | instskip(SKIP_2) | instid1(SALU_CYCLE_1)
	s_cmp_lg_u32 s22, 0
	s_add_nc_u64 s[22:23], s[14:15], 1
	s_sub_co_ci_u32 s12, s12, 0
	s_cmp_ge_u32 s12, s9
	s_cselect_b32 s24, -1, 0
	s_cmp_ge_u32 s20, s8
	s_cselect_b32 s20, -1, 0
	s_cmp_eq_u32 s12, s9
	s_cselect_b32 s12, s20, s24
	s_add_nc_u64 s[24:25], s[14:15], 2
	s_cmp_lg_u32 s12, 0
	s_cselect_b32 s12, s24, s22
	s_cselect_b32 s20, s25, s23
	s_cmp_lg_u32 s7, 0
	s_sub_co_ci_u32 s7, s13, s21
	s_wait_alu 0xfffe
	s_cmp_ge_u32 s7, s9
	s_cselect_b32 s13, -1, 0
	s_cmp_ge_u32 s3, s8
	s_cselect_b32 s3, -1, 0
	s_cmp_eq_u32 s7, s9
	s_cselect_b32 s3, s3, s13
	s_delay_alu instid0(SALU_CYCLE_1) | instskip(SKIP_4) | instid1(SALU_CYCLE_1)
	s_cmp_lg_u32 s3, 0
	s_mov_b32 s3, s17
	s_cselect_b32 s9, s20, s15
	s_cselect_b32 s8, s12, s14
	s_xor_b64 s[10:11], s[10:11], 0
	s_xor_b64 s[8:9], s[8:9], s[10:11]
	s_delay_alu instid0(SALU_CYCLE_1)
	s_sub_nc_u64 s[20:21], s[8:9], s[10:11]
	s_and_not1_b32 vcc_lo, exec_lo, s3
	s_cbranch_vccnz .LBB12_3
.LBB12_2:
	v_cvt_f32_u32_e32 v1, s16
	s_sub_co_i32 s7, 0, s16
	s_delay_alu instid0(VALU_DEP_1) | instskip(NEXT) | instid1(TRANS32_DEP_1)
	v_rcp_iflag_f32_e32 v1, v1
	v_mul_f32_e32 v1, 0x4f7ffffe, v1
	s_delay_alu instid0(VALU_DEP_1) | instskip(NEXT) | instid1(VALU_DEP_1)
	v_cvt_u32_f32_e32 v1, v1
	v_readfirstlane_b32 s3, v1
	s_wait_alu 0xfffe
	s_mul_i32 s7, s7, s3
	s_wait_alu 0xfffe
	s_mul_hi_u32 s7, s3, s7
	s_wait_alu 0xfffe
	s_add_co_i32 s3, s3, s7
	s_delay_alu instid0(SALU_CYCLE_1) | instskip(NEXT) | instid1(SALU_CYCLE_1)
	s_mul_hi_u32 s3, s2, s3
	s_mul_i32 s7, s3, s16
	s_wait_alu 0xfffe
	s_sub_co_i32 s2, s2, s7
	s_add_co_i32 s7, s3, 1
	s_sub_co_i32 s8, s2, s16
	s_cmp_ge_u32 s2, s16
	s_wait_alu 0xfffe
	s_cselect_b32 s3, s7, s3
	s_cselect_b32 s2, s8, s2
	s_add_co_i32 s7, s3, 1
	s_cmp_ge_u32 s2, s16
	s_wait_alu 0xfffe
	s_cselect_b32 s20, s7, s3
.LBB12_3:
	s_add_co_i32 s2, ttmp9, 1
	s_mov_b32 s8, 0
	s_ashr_i32 s3, s2, 31
	s_delay_alu instid0(SALU_CYCLE_1) | instskip(NEXT) | instid1(SALU_CYCLE_1)
	s_mul_u64 s[2:3], s[18:19], s[2:3]
	s_mov_b32 s9, s3
	s_delay_alu instid0(SALU_CYCLE_1)
	s_cmp_lg_u64 s[8:9], 0
	s_cbranch_scc0 .LBB12_22
; %bb.4:
	s_add_nc_u64 s[10:11], s[16:17], 0
	s_mov_b32 s23, s8
	s_xor_b64 s[10:11], s[10:11], 0
	s_mov_b32 s27, s8
	s_cvt_f32_u32 s7, s10
	s_cvt_f32_u32 s9, s11
	s_sub_nc_u64 s[14:15], 0, s[10:11]
	s_wait_alu 0xfffe
	s_delay_alu instid0(SALU_CYCLE_1) | instskip(SKIP_1) | instid1(SALU_CYCLE_2)
	s_fmamk_f32 s7, s9, 0x4f800000, s7
	s_wait_alu 0xfffe
	v_s_rcp_f32 s7, s7
	s_delay_alu instid0(TRANS32_DEP_1) | instskip(SKIP_1) | instid1(SALU_CYCLE_2)
	s_mul_f32 s7, s7, 0x5f7ffffc
	s_wait_alu 0xfffe
	s_mul_f32 s9, s7, 0x2f800000
	s_delay_alu instid0(SALU_CYCLE_3) | instskip(NEXT) | instid1(SALU_CYCLE_3)
	s_trunc_f32 s9, s9
	s_fmamk_f32 s7, s9, 0xcf800000, s7
	s_cvt_u32_f32 s13, s9
	s_wait_alu 0xfffe
	s_delay_alu instid0(SALU_CYCLE_1) | instskip(NEXT) | instid1(SALU_CYCLE_3)
	s_cvt_u32_f32 s12, s7
	s_mul_u64 s[24:25], s[14:15], s[12:13]
	s_delay_alu instid0(SALU_CYCLE_1)
	s_mul_hi_u32 s29, s12, s25
	s_mul_i32 s28, s12, s25
	s_mul_hi_u32 s22, s12, s24
	s_mul_i32 s9, s13, s24
	s_add_nc_u64 s[22:23], s[22:23], s[28:29]
	s_mul_hi_u32 s7, s13, s24
	s_mul_hi_u32 s21, s13, s25
	s_add_co_u32 s9, s22, s9
	s_wait_alu 0xfffe
	s_add_co_ci_u32 s26, s23, s7
	s_mul_i32 s24, s13, s25
	s_add_co_ci_u32 s25, s21, 0
	s_delay_alu instid0(SALU_CYCLE_1)
	s_add_nc_u64 s[22:23], s[26:27], s[24:25]
	s_mov_b32 s25, s8
	s_add_co_u32 s12, s12, s22
	s_cselect_b32 s7, -1, 0
	s_wait_alu 0xfffe
	s_cmp_lg_u32 s7, 0
	s_add_co_ci_u32 s13, s13, s23
	s_mov_b32 s23, s8
	s_mul_u64 s[14:15], s[14:15], s[12:13]
	s_delay_alu instid0(SALU_CYCLE_1)
	s_mul_hi_u32 s27, s12, s15
	s_mul_i32 s26, s12, s15
	s_mul_hi_u32 s22, s12, s14
	s_mul_i32 s9, s13, s14
	s_add_nc_u64 s[22:23], s[22:23], s[26:27]
	s_mul_hi_u32 s7, s13, s14
	s_mul_hi_u32 s21, s13, s15
	s_add_co_u32 s9, s22, s9
	s_wait_alu 0xfffe
	s_add_co_ci_u32 s24, s23, s7
	s_mul_i32 s14, s13, s15
	s_add_co_ci_u32 s15, s21, 0
	s_mov_b32 s23, s8
	s_add_nc_u64 s[14:15], s[24:25], s[14:15]
	s_delay_alu instid0(SALU_CYCLE_1) | instskip(SKIP_1) | instid1(SALU_CYCLE_1)
	s_add_co_u32 s7, s12, s14
	s_cselect_b32 s9, -1, 0
	s_cmp_lg_u32 s9, 0
	s_add_co_ci_u32 s9, s13, s15
	s_ashr_i32 s12, s3, 31
	s_delay_alu instid0(SALU_CYCLE_1) | instskip(NEXT) | instid1(SALU_CYCLE_1)
	s_mov_b32 s13, s12
	s_add_nc_u64 s[14:15], s[2:3], s[12:13]
	s_delay_alu instid0(SALU_CYCLE_1) | instskip(NEXT) | instid1(SALU_CYCLE_1)
	s_xor_b64 s[14:15], s[14:15], s[12:13]
	s_mul_hi_u32 s27, s14, s9
	s_mul_i32 s26, s14, s9
	s_wait_alu 0xfffe
	s_mul_hi_u32 s22, s14, s7
	s_mul_hi_u32 s21, s15, s7
	s_mul_i32 s7, s15, s7
	s_add_nc_u64 s[22:23], s[22:23], s[26:27]
	s_mul_hi_u32 s3, s15, s9
	s_wait_alu 0xfffe
	s_add_co_u32 s7, s22, s7
	s_add_co_ci_u32 s24, s23, s21
	s_mul_i32 s26, s15, s9
	s_add_co_ci_u32 s27, s3, 0
	s_delay_alu instid0(SALU_CYCLE_1) | instskip(NEXT) | instid1(SALU_CYCLE_1)
	s_add_nc_u64 s[22:23], s[24:25], s[26:27]
	s_mul_u64 s[24:25], s[10:11], s[22:23]
	s_add_nc_u64 s[26:27], s[22:23], 1
	s_sub_co_u32 s3, s14, s24
	s_cselect_b32 s7, -1, 0
	s_sub_co_i32 s9, s15, s25
	s_wait_alu 0xfffe
	s_cmp_lg_u32 s7, 0
	s_add_nc_u64 s[28:29], s[22:23], 2
	s_sub_co_ci_u32 s9, s9, s11
	s_sub_co_u32 s14, s3, s10
	s_cselect_b32 s21, -1, 0
	s_delay_alu instid0(SALU_CYCLE_1) | instskip(SKIP_1) | instid1(SALU_CYCLE_1)
	s_cmp_lg_u32 s21, 0
	s_sub_co_ci_u32 s9, s9, 0
	s_cmp_ge_u32 s9, s11
	s_cselect_b32 s21, -1, 0
	s_cmp_ge_u32 s14, s10
	s_cselect_b32 s14, -1, 0
	s_cmp_eq_u32 s9, s11
	s_cselect_b32 s9, s14, s21
	s_delay_alu instid0(SALU_CYCLE_1)
	s_cmp_lg_u32 s9, 0
	s_cselect_b32 s9, s28, s26
	s_cselect_b32 s14, s29, s27
	s_cmp_lg_u32 s7, 0
	s_sub_co_ci_u32 s7, s15, s25
	s_wait_alu 0xfffe
	s_cmp_ge_u32 s7, s11
	s_cselect_b32 s15, -1, 0
	s_cmp_ge_u32 s3, s10
	s_cselect_b32 s3, -1, 0
	s_cmp_eq_u32 s7, s11
	s_cselect_b32 s3, s3, s15
	s_delay_alu instid0(SALU_CYCLE_1) | instskip(SKIP_3) | instid1(SALU_CYCLE_1)
	s_cmp_lg_u32 s3, 0
	s_cselect_b32 s11, s14, s23
	s_cselect_b32 s10, s9, s22
	s_xor_b64 s[12:13], s[12:13], 0
	s_xor_b64 s[10:11], s[10:11], s[12:13]
	s_delay_alu instid0(SALU_CYCLE_1)
	s_sub_nc_u64 s[10:11], s[10:11], s[12:13]
	s_load_b96 s[12:14], s[0:1], 0x44
	s_and_not1_b32 vcc_lo, exec_lo, s8
	s_cbranch_vccnz .LBB12_6
.LBB12_5:
	v_cvt_f32_u32_e32 v1, s16
	s_sub_co_i32 s7, 0, s16
	s_delay_alu instid0(VALU_DEP_1) | instskip(NEXT) | instid1(TRANS32_DEP_1)
	v_rcp_iflag_f32_e32 v1, v1
	v_mul_f32_e32 v1, 0x4f7ffffe, v1
	s_delay_alu instid0(VALU_DEP_1) | instskip(NEXT) | instid1(VALU_DEP_1)
	v_cvt_u32_f32_e32 v1, v1
	v_readfirstlane_b32 s3, v1
	s_wait_alu 0xfffe
	s_mul_i32 s7, s7, s3
	s_wait_alu 0xfffe
	s_mul_hi_u32 s7, s3, s7
	s_wait_alu 0xfffe
	s_add_co_i32 s3, s3, s7
	s_delay_alu instid0(SALU_CYCLE_1) | instskip(NEXT) | instid1(SALU_CYCLE_1)
	s_mul_hi_u32 s3, s2, s3
	s_mul_i32 s7, s3, s16
	s_wait_alu 0xfffe
	s_sub_co_i32 s2, s2, s7
	s_add_co_i32 s7, s3, 1
	s_sub_co_i32 s8, s2, s16
	s_cmp_ge_u32 s2, s16
	s_wait_alu 0xfffe
	s_cselect_b32 s3, s7, s3
	s_cselect_b32 s2, s8, s2
	s_add_co_i32 s7, s3, 1
	s_cmp_ge_u32 s2, s16
	s_wait_alu 0xfffe
	s_cselect_b32 s10, s7, s3
.LBB12_6:
	s_mov_b32 s21, 0
	s_wait_kmcnt 0x0
	s_mov_b32 s22, s12
	s_mov_b32 s23, s21
	s_cmp_eq_u32 s20, s10
	s_mul_u64 s[2:3], s[20:21], s[22:23]
	s_cselect_b32 s7, -1, 0
	s_add_co_i32 s2, s3, s20
	s_mov_b32 s11, s21
	s_lshr_b32 s12, s2, s13
	s_mul_u64 s[2:3], s[10:11], s[22:23]
	s_mul_i32 s2, s12, s14
	s_delay_alu instid0(SALU_CYCLE_1) | instskip(SKIP_2) | instid1(SALU_CYCLE_1)
	s_cmp_eq_u32 s2, s20
	s_cselect_b32 s2, -1, 0
	s_add_co_i32 s3, s3, s10
	s_lshr_b32 s3, s3, s13
	s_delay_alu instid0(SALU_CYCLE_1)
	s_cmp_eq_u32 s12, s3
	s_mul_i32 s3, s3, s14
	s_cselect_b32 s8, -1, 0
	s_cmp_lg_u32 s3, s10
	s_cselect_b32 s3, -1, 0
	s_wait_alu 0xfffe
	s_or_b32 s2, s7, s2
	s_and_b32 s3, s8, s3
	s_delay_alu instid0(SALU_CYCLE_1) | instskip(NEXT) | instid1(SALU_CYCLE_1)
	s_or_b32 s2, s2, s3
	s_and_b32 vcc_lo, exec_lo, s2
	s_cbranch_vccnz .LBB12_24
; %bb.7:
	s_load_b256 s[24:31], s[0:1], 0x20
	s_mov_b32 s3, s21
	s_wait_kmcnt 0x0
	s_mov_b32 s2, s24
	s_delay_alu instid0(SALU_CYCLE_1) | instskip(NEXT) | instid1(SALU_CYCLE_1)
	s_mul_u64 s[2:3], s[20:21], s[2:3]
	s_add_co_i32 s2, s3, s20
	s_delay_alu instid0(SALU_CYCLE_1) | instskip(SKIP_2) | instid1(SALU_CYCLE_1)
	s_lshr_b32 s7, s2, s25
	s_load_b32 s2, s[0:1], 0x40
	s_mul_i32 s3, s7, s26
	s_sub_co_i32 s3, s20, s3
	s_delay_alu instid0(SALU_CYCLE_1) | instskip(NEXT) | instid1(SALU_CYCLE_1)
	s_mul_hi_u32 s8, s3, s27
	s_add_co_i32 s8, s3, s8
	s_delay_alu instid0(SALU_CYCLE_1) | instskip(NEXT) | instid1(SALU_CYCLE_1)
	s_lshr_b32 s8, s8, s28
	s_mul_i32 s9, s8, s29
	s_delay_alu instid0(SALU_CYCLE_1) | instskip(NEXT) | instid1(SALU_CYCLE_1)
	s_sub_co_i32 s9, s3, s9
	s_mul_hi_u32 s3, s9, s30
	s_delay_alu instid0(SALU_CYCLE_1) | instskip(NEXT) | instid1(SALU_CYCLE_1)
	s_add_co_i32 s3, s9, s3
	s_lshr_b32 s24, s3, s31
	s_mov_b32 s3, s21
	s_wait_kmcnt 0x0
	s_mul_i32 s2, s24, s2
	s_lshl_b32 s21, s24, 3
	s_sub_co_i32 s2, s9, s2
	s_delay_alu instid0(SALU_CYCLE_1) | instskip(SKIP_2) | instid1(SALU_CYCLE_1)
	s_mul_u64 s[10:11], s[2:3], s[22:23]
	s_lshr_b32 s3, ttmp7, 16
	s_add_co_i32 s2, s2, s11
	s_lshr_b32 s15, s2, s13
	s_and_b32 s2, ttmp7, 0xffff
	s_lshl_b32 s9, s15, 2
	s_delay_alu instid0(SALU_CYCLE_1) | instskip(NEXT) | instid1(SALU_CYCLE_1)
	s_add_co_i32 s9, s9, s2
	s_cmp_lt_i32 s9, s4
	s_cselect_b32 s9, -1, 0
	s_add_co_i32 s10, s21, s3
	s_delay_alu instid0(SALU_CYCLE_1) | instskip(SKIP_1) | instid1(SALU_CYCLE_1)
	s_cmp_lt_i32 s10, s6
	s_cselect_b32 s10, -1, 0
	s_and_b32 s9, s9, s10
	s_delay_alu instid0(SALU_CYCLE_1)
	s_and_not1_b32 vcc_lo, exec_lo, s9
	s_cbranch_vccnz .LBB12_24
; %bb.8:
	s_mul_i32 s4, s7, s4
	s_mul_i32 s6, s8, s6
	s_add_co_i32 s4, s4, s2
	s_load_b128 s[8:11], s[0:1], 0x0
	s_mul_i32 s4, s4, s5
	s_mul_i32 s1, s5, s15
	s_add_co_i32 s4, s4, s3
	s_lshl_b32 s1, s1, 9
	s_add_co_i32 s0, s4, s6
	s_lshl_b32 s15, s2, 3
	s_add_co_i32 s0, s0, s21
	s_add_co_i32 s15, s15, s3
	s_lshl_b32 s0, s0, 7
	v_cvt_f32_u32_e32 v4, s16
	s_add_co_i32 s1, s1, s0
	s_add_co_i32 s34, ttmp9, -1
	v_or_b32_e32 v1, s1, v0
	s_add_nc_u64 s[0:1], s[16:17], 0
	v_rcp_iflag_f32_e32 v4, v4
	s_wait_alu 0xfffe
	s_xor_b64 s[6:7], s[0:1], 0
	s_lshl_b32 s0, ttmp9, 5
	v_ashrrev_i32_e32 v2, 31, v1
	s_wait_alu 0xfffe
	s_cvt_f32_u32 s1, s6
	s_cvt_f32_u32 s2, s7
	s_add_co_i32 s0, s15, s0
	v_lshl_or_b32 v0, s15, 7, v0
	v_lshlrev_b64_e32 v[1:2], 2, v[1:2]
	s_wait_alu 0xfffe
	s_fmamk_f32 s2, s2, 0x4f800000, s1
	s_ashr_i32 s1, s0, 31
	s_sub_nc_u64 s[30:31], 0, s[6:7]
	s_wait_alu 0xfffe
	s_lshl_b64 s[0:1], s[0:1], 3
	v_s_rcp_f32 s2, s2
	s_wait_kmcnt 0x0
	v_add_co_u32 v1, vcc_lo, s8, v1
	s_delay_alu instid0(VALU_DEP_1)
	v_add_co_ci_u32_e64 v2, null, s9, v2, vcc_lo
	s_wait_alu 0xfffe
	s_add_nc_u64 s[0:1], s[10:11], s[0:1]
	s_mov_b32 s8, 0
	s_load_b64 s[26:27], s[0:1], 0x0
	global_load_b32 v3, v[1:2], off
	s_mul_f32 s2, s2, 0x5f7ffffc
	v_mul_f32_e32 v4, 0x4f7ffffe, v4
	s_lshl_b32 s0, s16, 7
	s_wait_alu 0xfffe
	s_mul_f32 s1, s2, 0x2f800000
	s_wait_alu 0xfffe
	s_delay_alu instid0(SALU_CYCLE_2)
	s_trunc_f32 s3, s1
	s_mov_b32 s1, s8
	s_wait_alu 0xfffe
	s_lshl_b64 s[0:1], s[0:1], 2
	s_fmamk_f32 s2, s3, 0xcf800000, s2
	s_cvt_u32_f32 s29, s3
	s_wait_alu 0xfffe
	s_add_nc_u64 s[24:25], s[10:11], s[0:1]
	s_cvt_u32_f32 s28, s2
	s_wait_kmcnt 0x0
	v_mov_b32_e32 v5, s27
	v_cvt_u32_f32_e32 v4, v4
.LBB12_9:                               ; =>This Inner Loop Header: Depth=1
	s_wait_alu 0xfffe
	s_ashr_i32 s35, s34, 31
	s_mov_b32 s2, -1
	s_wait_alu 0xfffe
	s_mul_u64 s[0:1], s[34:35], s[18:19]
                                        ; implicit-def: $sgpr38_sgpr39
	s_wait_alu 0xfffe
	s_mov_b32 s9, s1
	s_wait_alu 0xfffe
	s_cmp_lg_u64 s[8:9], 0
	s_cbranch_scc0 .LBB12_11
; %bb.10:                               ;   in Loop: Header=BB12_9 Depth=1
	s_mul_u64 s[2:3], s[30:31], s[28:29]
	s_mov_b32 s37, s8
	s_wait_alu 0xfffe
	s_mul_hi_u32 s5, s28, s3
	s_mul_i32 s4, s28, s3
	s_mul_hi_u32 s36, s28, s2
	s_mul_hi_u32 s9, s29, s2
	s_wait_alu 0xfffe
	s_add_nc_u64 s[4:5], s[36:37], s[4:5]
	s_mul_i32 s2, s29, s2
	s_mul_hi_u32 s17, s29, s3
	s_wait_alu 0xfffe
	s_add_co_u32 s2, s4, s2
	s_add_co_ci_u32 s2, s5, s9
	s_add_co_ci_u32 s5, s17, 0
	s_mul_i32 s4, s29, s3
	s_mov_b32 s3, s8
	s_mov_b32 s39, s8
	s_wait_alu 0xfffe
	s_add_nc_u64 s[2:3], s[2:3], s[4:5]
	s_wait_alu 0xfffe
	s_add_co_u32 s2, s28, s2
	s_cselect_b32 s4, -1, 0
	s_wait_alu 0xfffe
	s_cmp_lg_u32 s4, 0
	s_add_co_ci_u32 s3, s29, s3
	s_wait_alu 0xfffe
	s_mul_u64 s[4:5], s[30:31], s[2:3]
	s_wait_alu 0xfffe
	s_mul_hi_u32 s37, s2, s5
	s_mul_i32 s36, s2, s5
	s_mul_hi_u32 s38, s2, s4
	s_mul_hi_u32 s9, s3, s4
	s_mul_i32 s4, s3, s4
	s_wait_alu 0xfffe
	s_add_nc_u64 s[36:37], s[38:39], s[36:37]
	s_mul_hi_u32 s17, s3, s5
	s_wait_alu 0xfffe
	s_add_co_u32 s4, s36, s4
	s_add_co_ci_u32 s4, s37, s9
	s_add_co_ci_u32 s37, s17, 0
	s_mul_i32 s36, s3, s5
	s_mov_b32 s5, s8
	s_wait_alu 0xfffe
	s_add_nc_u64 s[4:5], s[4:5], s[36:37]
	s_mov_b32 s37, s8
	s_wait_alu 0xfffe
	s_add_co_u32 s9, s2, s4
	s_cselect_b32 s2, -1, 0
	s_wait_alu 0xfffe
	s_cmp_lg_u32 s2, 0
	s_add_co_ci_u32 s17, s3, s5
	s_ashr_i32 s2, s1, 31
	s_wait_alu 0xfffe
	s_mov_b32 s3, s2
	s_wait_alu 0xfffe
	s_add_nc_u64 s[4:5], s[0:1], s[2:3]
	s_wait_alu 0xfffe
	s_xor_b64 s[4:5], s[4:5], s[2:3]
	s_wait_alu 0xfffe
	s_mul_hi_u32 s39, s4, s17
	s_mul_i32 s38, s4, s17
	s_mul_hi_u32 s36, s4, s9
	s_mul_i32 s21, s5, s9
	s_wait_alu 0xfffe
	s_add_nc_u64 s[36:37], s[36:37], s[38:39]
	s_mul_hi_u32 s9, s5, s9
	s_mul_hi_u32 s1, s5, s17
	s_wait_alu 0xfffe
	s_add_co_u32 s21, s36, s21
	s_add_co_ci_u32 s36, s37, s9
	s_add_co_ci_u32 s39, s1, 0
	s_mul_i32 s38, s5, s17
	s_mov_b32 s37, s8
	s_wait_alu 0xfffe
	s_add_nc_u64 s[36:37], s[36:37], s[38:39]
	s_wait_alu 0xfffe
	s_mul_u64 s[38:39], s[6:7], s[36:37]
	s_add_nc_u64 s[40:41], s[36:37], 1
	s_sub_co_u32 s1, s4, s38
	s_cselect_b32 s4, -1, 0
	s_sub_co_i32 s9, s5, s39
	s_wait_alu 0xfffe
	s_cmp_lg_u32 s4, 0
	s_add_nc_u64 s[42:43], s[36:37], 2
	s_sub_co_ci_u32 s9, s9, s7
	s_sub_co_u32 s17, s1, s6
	s_cselect_b32 s21, -1, 0
	s_delay_alu instid0(SALU_CYCLE_1)
	s_cmp_lg_u32 s21, 0
	s_wait_alu 0xfffe
	s_sub_co_ci_u32 s9, s9, 0
	s_wait_alu 0xfffe
	s_cmp_ge_u32 s9, s7
	s_cselect_b32 s21, -1, 0
	s_cmp_ge_u32 s17, s6
	s_cselect_b32 s17, -1, 0
	s_cmp_eq_u32 s9, s7
	s_wait_alu 0xfffe
	s_cselect_b32 s9, s17, s21
	s_wait_alu 0xfffe
	s_cmp_lg_u32 s9, 0
	s_cselect_b32 s9, s42, s40
	s_cselect_b32 s17, s43, s41
	s_cmp_lg_u32 s4, 0
	s_sub_co_ci_u32 s4, s5, s39
	s_wait_alu 0xfffe
	s_cmp_ge_u32 s4, s7
	s_cselect_b32 s5, -1, 0
	s_cmp_ge_u32 s1, s6
	s_cselect_b32 s1, -1, 0
	s_cmp_eq_u32 s4, s7
	s_wait_alu 0xfffe
	s_cselect_b32 s1, s1, s5
	s_wait_alu 0xfffe
	s_cmp_lg_u32 s1, 0
	s_cselect_b32 s5, s17, s37
	s_cselect_b32 s4, s9, s36
	s_xor_b64 s[2:3], s[2:3], 0
	s_wait_alu 0xfffe
	s_xor_b64 s[4:5], s[4:5], s[2:3]
	s_wait_alu 0xfffe
	s_sub_nc_u64 s[38:39], s[4:5], s[2:3]
	s_mov_b32 s2, 0
.LBB12_11:                              ;   in Loop: Header=BB12_9 Depth=1
	s_wait_alu 0xfffe
	s_and_not1_b32 vcc_lo, exec_lo, s2
	s_wait_alu 0xfffe
	s_cbranch_vccnz .LBB12_13
; %bb.12:                               ;   in Loop: Header=BB12_9 Depth=1
	v_readfirstlane_b32 s1, v4
	s_sub_co_i32 s2, 0, s16
	s_wait_alu 0xfffe
	s_mul_i32 s2, s2, s1
	s_wait_alu 0xfffe
	s_mul_hi_u32 s2, s1, s2
	s_wait_alu 0xfffe
	s_add_co_i32 s1, s1, s2
	s_wait_alu 0xfffe
	s_mul_hi_u32 s1, s0, s1
	s_wait_alu 0xfffe
	s_mul_i32 s2, s1, s16
	s_wait_alu 0xfffe
	s_sub_co_i32 s0, s0, s2
	s_add_co_i32 s2, s1, 1
	s_wait_alu 0xfffe
	s_sub_co_i32 s3, s0, s16
	s_cmp_ge_u32 s0, s16
	s_cselect_b32 s1, s2, s1
	s_wait_alu 0xfffe
	s_cselect_b32 s0, s3, s0
	s_add_co_i32 s2, s1, 1
	s_wait_alu 0xfffe
	s_cmp_ge_u32 s0, s16
	s_cselect_b32 s38, s2, s1
.LBB12_13:                              ;   in Loop: Header=BB12_9 Depth=1
	v_readfirstlane_b32 s9, v0
	s_cmp_lg_u32 s20, s38
	s_mov_b32 s0, -1
                                        ; implicit-def: $sgpr21
                                        ; implicit-def: $vgpr6
                                        ; implicit-def: $vgpr7
                                        ; implicit-def: $sgpr17
                                        ; implicit-def: $sgpr27
	s_cbranch_scc1 .LBB12_16
; %bb.14:                               ;   in Loop: Header=BB12_9 Depth=1
	s_wait_alu 0xfffe
	s_and_not1_b32 vcc_lo, exec_lo, s0
	s_wait_alu 0xfffe
	s_cbranch_vccz .LBB12_19
.LBB12_15:                              ;   in Loop: Header=BB12_9 Depth=1
	s_and_not1_b32 vcc_lo, exec_lo, s21
	s_wait_alu 0xfffe
	s_cbranch_vccnz .LBB12_20
	s_branch .LBB12_23
.LBB12_16:                              ;   in Loop: Header=BB12_9 Depth=1
	s_add_co_i32 s0, s34, s16
	s_mov_b32 s1, s8
	s_wait_alu 0xfffe
	s_lshl_b32 s0, s0, 5
	v_max_num_f32_e64 v6, s26, s26
	s_wait_alu 0xfffe
	s_add_co_i32 s0, s0, s15
	s_mov_b32 s39, s8
	s_wait_alu 0xfffe
	s_lshl_b64 s[0:1], s[0:1], 3
	s_mul_u64 s[40:41], s[38:39], s[22:23]
	s_wait_alu 0xfffe
	s_add_nc_u64 s[0:1], s[10:11], s[0:1]
	s_mov_b32 s27, s20
	s_load_b64 s[36:37], s[0:1], 0x0
	v_readfirstlane_b32 s0, v6
	s_wait_kmcnt 0x0
	v_max_num_f32_e64 v7, s36, s36
	s_delay_alu instid0(VALU_DEP_1) | instskip(SKIP_2) | instid1(SALU_CYCLE_2)
	v_readfirstlane_b32 s1, v7
	s_max_num_f32 s9, s0, s1
	s_wait_alu 0xfffe
	s_sub_f32 s33, s26, s9
	s_sub_f32 s35, s36, s9
	s_wait_alu 0xfffe
	s_delay_alu instid0(SALU_CYCLE_1)
	s_cmp_nlt_f32 s33, 0xc2ce8ed0
	s_cselect_b32 s0, -1, 0
	s_cmp_ngt_f32 s33, 0x42b17218
	s_cselect_b32 s1, -1, 0
	s_cmp_ge_f32 s33, 0xc1a00000
	s_cselect_b32 s2, -1, 0
	s_cmp_nlt_f32 s35, 0xc2ce8ed0
	s_cselect_b32 s3, -1, 0
	s_cmp_ngt_f32 s35, 0x42b17218
	s_cselect_b32 s4, -1, 0
	s_cmp_ge_f32 s35, 0xc1a00000
	s_cselect_b32 s5, -1, 0
	s_add_co_i32 s17, s41, s38
	s_wait_alu 0xfffe
	s_lshr_b32 s17, s17, s13
	s_wait_alu 0xfffe
	s_mul_i32 s21, s17, s14
	s_delay_alu instid0(SALU_CYCLE_1)
	s_cmp_eq_u32 s21, s38
	s_cselect_b32 s21, -1, 0
	s_cmp_lt_u32 s17, s12
	s_cselect_b32 s17, -1, 0
	s_wait_alu 0xfffe
	s_or_b32 s17, s17, s21
	s_mov_b32 s21, -1
	s_wait_alu 0xfffe
	s_and_b32 vcc_lo, exec_lo, s17
	s_mov_b32 s17, s34
	s_wait_alu 0xfffe
	s_cbranch_vccnz .LBB12_18
; %bb.17:                               ;   in Loop: Header=BB12_9 Depth=1
	s_add_co_i32 s17, s34, -1
	s_mov_b32 s21, 0
	s_mov_b32 s27, s38
.LBB12_18:                              ;   in Loop: Header=BB12_9 Depth=1
	v_lshl_add_u32 v6, s34, 12, v0
	s_mul_f32 s36, s35, 0x3fb8aa3b
	s_mul_f32 s38, s33, 0x3fb8aa3b
	s_wait_alu 0xfffe
	s_delay_alu instid0(SALU_CYCLE_1)
	s_xor_b32 s39, s36, 0x80000000
	v_ashrrev_i32_e32 v7, 31, v6
	s_rndne_f32 s40, s36
	s_fmamk_f32 s39, s35, 0x3fb8aa3b, s39
	s_xor_b32 s41, s38, 0x80000000
	s_rndne_f32 s42, s38
	v_lshlrev_b64_e32 v[6:7], 2, v[6:7]
	s_sub_f32 s36, s36, s40
	s_fmamk_f32 s35, s35, 0x32a5705f, s39
	s_fmamk_f32 s39, s33, 0x3fb8aa3b, s41
	s_sub_f32 s38, s38, s42
	s_delay_alu instid0(VALU_DEP_1)
	v_add_co_u32 v6, vcc_lo, s24, v6
	s_wait_alu 0xfffd
	v_add_co_ci_u32_e64 v7, null, s25, v7, vcc_lo
	s_wait_alu 0xfffe
	s_add_f32 s35, s36, s35
	s_fmamk_f32 s33, s33, 0x32a5705f, s39
	s_cvt_i32_f32 s36, s40
	global_load_b32 v6, v[6:7], off
	s_wait_alu 0xfffe
	v_s_exp_f32 s35, s35
	s_add_f32 s33, s38, s33
	s_wait_alu 0xfffe
	s_delay_alu instid0(SALU_CYCLE_2) | instskip(NEXT) | instid1(TRANS32_DEP_2)
	v_s_exp_f32 s33, s33
	v_ldexp_f32 v7, s35, s36
	s_cvt_i32_f32 s35, s42
	s_wait_alu 0xf1fe
	s_delay_alu instid0(TRANS32_DEP_1) | instid1(SALU_CYCLE_2)
	v_ldexp_f32 v8, s33, s35
	s_delay_alu instid0(VALU_DEP_2) | instskip(NEXT) | instid1(VALU_DEP_2)
	v_cndmask_b32_e64 v7, 0, v7, s3
	v_cndmask_b32_e64 v8, 0, v8, s0
	s_delay_alu instid0(VALU_DEP_2) | instskip(NEXT) | instid1(VALU_DEP_2)
	v_cndmask_b32_e64 v7, 0x7f800000, v7, s4
	v_cndmask_b32_e64 v8, 0x7f800000, v8, s1
	;; [unrolled: 3-line block ×3, first 2 shown]
	s_wait_loadcnt 0x0
	s_delay_alu instid0(VALU_DEP_2) | instskip(SKIP_1) | instid1(VALU_DEP_1)
	v_mul_f32_e32 v6, v6, v7
	v_mul_f32_e32 v7, s37, v7
	v_fmac_f32_e32 v7, v5, v8
	s_delay_alu instid0(VALU_DEP_3)
	v_fmac_f32_e32 v6, v3, v8
	s_cbranch_execnz .LBB12_15
.LBB12_19:                              ;   in Loop: Header=BB12_9 Depth=1
	s_wait_loadcnt 0x0
	v_dual_mov_b32 v7, v5 :: v_dual_mov_b32 v6, v3
	s_add_co_i32 s17, s34, -1
	s_mov_b32 s27, s20
	s_mov_b32 s9, s26
	s_cbranch_execz .LBB12_23
.LBB12_20:                              ;   in Loop: Header=BB12_9 Depth=1
	v_mov_b32_e32 v5, v7
	s_wait_loadcnt 0x0
	v_mov_b32_e32 v3, v6
	s_wait_alu 0xfffe
	s_mov_b32 s20, s27
	s_mov_b32 s34, s17
	;; [unrolled: 1-line block ×3, first 2 shown]
	s_branch .LBB12_9
.LBB12_21:
                                        ; implicit-def: $sgpr20_sgpr21
	s_branch .LBB12_2
.LBB12_22:
                                        ; implicit-def: $sgpr10_sgpr11
	s_load_b96 s[12:14], s[0:1], 0x44
	s_branch .LBB12_5
.LBB12_23:
	v_div_scale_f32 v0, null, v7, v7, v6
	s_wait_loadcnt 0x0
	s_delay_alu instid0(VALU_DEP_1) | instskip(NEXT) | instid1(TRANS32_DEP_1)
	v_rcp_f32_e32 v3, v0
	v_fma_f32 v4, -v0, v3, 1.0
	s_delay_alu instid0(VALU_DEP_1) | instskip(SKIP_1) | instid1(VALU_DEP_1)
	v_fmac_f32_e32 v3, v4, v3
	v_div_scale_f32 v4, vcc_lo, v6, v7, v6
	v_mul_f32_e32 v5, v4, v3
	s_delay_alu instid0(VALU_DEP_1) | instskip(NEXT) | instid1(VALU_DEP_1)
	v_fma_f32 v8, -v0, v5, v4
	v_fmac_f32_e32 v5, v8, v3
	s_delay_alu instid0(VALU_DEP_1) | instskip(SKIP_1) | instid1(VALU_DEP_1)
	v_fma_f32 v0, -v0, v5, v4
	s_wait_alu 0xfffd
	v_div_fmas_f32 v0, v0, v3, v5
	s_delay_alu instid0(VALU_DEP_1)
	v_div_fixup_f32 v0, v0, v7, v6
	global_store_b32 v[1:2], v0, off
.LBB12_24:
	s_endpgm
	.section	.rodata,"a",@progbits
	.p2align	6, 0x0
	.amdhsa_kernel _ZL33flash_attn_stream_k_fixup_generalILi128ELi4ELi8EEvPfPK15HIP_vector_typeIfLj2EEiiiiS1_IjLj3EES5_S5_S5_
		.amdhsa_group_segment_fixed_size 0
		.amdhsa_private_segment_fixed_size 0
		.amdhsa_kernarg_size 336
		.amdhsa_user_sgpr_count 2
		.amdhsa_user_sgpr_dispatch_ptr 0
		.amdhsa_user_sgpr_queue_ptr 0
		.amdhsa_user_sgpr_kernarg_segment_ptr 1
		.amdhsa_user_sgpr_dispatch_id 0
		.amdhsa_user_sgpr_private_segment_size 0
		.amdhsa_wavefront_size32 1
		.amdhsa_uses_dynamic_stack 0
		.amdhsa_enable_private_segment 0
		.amdhsa_system_sgpr_workgroup_id_x 1
		.amdhsa_system_sgpr_workgroup_id_y 1
		.amdhsa_system_sgpr_workgroup_id_z 1
		.amdhsa_system_sgpr_workgroup_info 0
		.amdhsa_system_vgpr_workitem_id 0
		.amdhsa_next_free_vgpr 9
		.amdhsa_next_free_sgpr 44
		.amdhsa_reserve_vcc 1
		.amdhsa_float_round_mode_32 0
		.amdhsa_float_round_mode_16_64 0
		.amdhsa_float_denorm_mode_32 3
		.amdhsa_float_denorm_mode_16_64 3
		.amdhsa_fp16_overflow 0
		.amdhsa_workgroup_processor_mode 1
		.amdhsa_memory_ordered 1
		.amdhsa_forward_progress 1
		.amdhsa_inst_pref_size 28
		.amdhsa_round_robin_scheduling 0
		.amdhsa_exception_fp_ieee_invalid_op 0
		.amdhsa_exception_fp_denorm_src 0
		.amdhsa_exception_fp_ieee_div_zero 0
		.amdhsa_exception_fp_ieee_overflow 0
		.amdhsa_exception_fp_ieee_underflow 0
		.amdhsa_exception_fp_ieee_inexact 0
		.amdhsa_exception_int_div_zero 0
	.end_amdhsa_kernel
	.section	.text._ZL33flash_attn_stream_k_fixup_generalILi128ELi4ELi8EEvPfPK15HIP_vector_typeIfLj2EEiiiiS1_IjLj3EES5_S5_S5_,"axG",@progbits,_ZL33flash_attn_stream_k_fixup_generalILi128ELi4ELi8EEvPfPK15HIP_vector_typeIfLj2EEiiiiS1_IjLj3EES5_S5_S5_,comdat
.Lfunc_end12:
	.size	_ZL33flash_attn_stream_k_fixup_generalILi128ELi4ELi8EEvPfPK15HIP_vector_typeIfLj2EEiiiiS1_IjLj3EES5_S5_S5_, .Lfunc_end12-_ZL33flash_attn_stream_k_fixup_generalILi128ELi4ELi8EEvPfPK15HIP_vector_typeIfLj2EEiiiiS1_IjLj3EES5_S5_S5_
                                        ; -- End function
	.set _ZL33flash_attn_stream_k_fixup_generalILi128ELi4ELi8EEvPfPK15HIP_vector_typeIfLj2EEiiiiS1_IjLj3EES5_S5_S5_.num_vgpr, 9
	.set _ZL33flash_attn_stream_k_fixup_generalILi128ELi4ELi8EEvPfPK15HIP_vector_typeIfLj2EEiiiiS1_IjLj3EES5_S5_S5_.num_agpr, 0
	.set _ZL33flash_attn_stream_k_fixup_generalILi128ELi4ELi8EEvPfPK15HIP_vector_typeIfLj2EEiiiiS1_IjLj3EES5_S5_S5_.numbered_sgpr, 44
	.set _ZL33flash_attn_stream_k_fixup_generalILi128ELi4ELi8EEvPfPK15HIP_vector_typeIfLj2EEiiiiS1_IjLj3EES5_S5_S5_.num_named_barrier, 0
	.set _ZL33flash_attn_stream_k_fixup_generalILi128ELi4ELi8EEvPfPK15HIP_vector_typeIfLj2EEiiiiS1_IjLj3EES5_S5_S5_.private_seg_size, 0
	.set _ZL33flash_attn_stream_k_fixup_generalILi128ELi4ELi8EEvPfPK15HIP_vector_typeIfLj2EEiiiiS1_IjLj3EES5_S5_S5_.uses_vcc, 1
	.set _ZL33flash_attn_stream_k_fixup_generalILi128ELi4ELi8EEvPfPK15HIP_vector_typeIfLj2EEiiiiS1_IjLj3EES5_S5_S5_.uses_flat_scratch, 0
	.set _ZL33flash_attn_stream_k_fixup_generalILi128ELi4ELi8EEvPfPK15HIP_vector_typeIfLj2EEiiiiS1_IjLj3EES5_S5_S5_.has_dyn_sized_stack, 0
	.set _ZL33flash_attn_stream_k_fixup_generalILi128ELi4ELi8EEvPfPK15HIP_vector_typeIfLj2EEiiiiS1_IjLj3EES5_S5_S5_.has_recursion, 0
	.set _ZL33flash_attn_stream_k_fixup_generalILi128ELi4ELi8EEvPfPK15HIP_vector_typeIfLj2EEiiiiS1_IjLj3EES5_S5_S5_.has_indirect_call, 0
	.section	.AMDGPU.csdata,"",@progbits
; Kernel info:
; codeLenInByte = 3548
; TotalNumSgprs: 46
; NumVgprs: 9
; ScratchSize: 0
; MemoryBound: 0
; FloatMode: 240
; IeeeMode: 1
; LDSByteSize: 0 bytes/workgroup (compile time only)
; SGPRBlocks: 0
; VGPRBlocks: 1
; NumSGPRsForWavesPerEU: 46
; NumVGPRsForWavesPerEU: 9
; Occupancy: 16
; WaveLimiterHint : 0
; COMPUTE_PGM_RSRC2:SCRATCH_EN: 0
; COMPUTE_PGM_RSRC2:USER_SGPR: 2
; COMPUTE_PGM_RSRC2:TRAP_HANDLER: 0
; COMPUTE_PGM_RSRC2:TGID_X_EN: 1
; COMPUTE_PGM_RSRC2:TGID_Y_EN: 1
; COMPUTE_PGM_RSRC2:TGID_Z_EN: 1
; COMPUTE_PGM_RSRC2:TIDIG_COMP_CNT: 0
	.section	.text._ZL15flash_attn_tileILi192ELi128ELi2ELi8ELb0EEvPKcS1_S1_S1_S1_PKiPfP15HIP_vector_typeIfLj2EEffffjfiS5_IjLj3EEiiiiiiiiiiiliiliiiiil,"axG",@progbits,_ZL15flash_attn_tileILi192ELi128ELi2ELi8ELb0EEvPKcS1_S1_S1_S1_PKiPfP15HIP_vector_typeIfLj2EEffffjfiS5_IjLj3EEiiiiiiiiiiiliiliiiiil,comdat
	.globl	_ZL15flash_attn_tileILi192ELi128ELi2ELi8ELb0EEvPKcS1_S1_S1_S1_PKiPfP15HIP_vector_typeIfLj2EEffffjfiS5_IjLj3EEiiiiiiiiiiiliiliiiiil ; -- Begin function _ZL15flash_attn_tileILi192ELi128ELi2ELi8ELb0EEvPKcS1_S1_S1_S1_PKiPfP15HIP_vector_typeIfLj2EEffffjfiS5_IjLj3EEiiiiiiiiiiiliiliiiiil
	.p2align	8
	.type	_ZL15flash_attn_tileILi192ELi128ELi2ELi8ELb0EEvPKcS1_S1_S1_S1_PKiPfP15HIP_vector_typeIfLj2EEffffjfiS5_IjLj3EEiiiiiiiiiiiliiliiiiil,@function
_ZL15flash_attn_tileILi192ELi128ELi2ELi8ELb0EEvPKcS1_S1_S1_S1_PKiPfP15HIP_vector_typeIfLj2EEffffjfiS5_IjLj3EEiiiiiiiiiiiliiliiiiil: ; @_ZL15flash_attn_tileILi192ELi128ELi2ELi8ELb0EEvPKcS1_S1_S1_S1_PKiPfP15HIP_vector_typeIfLj2EEffffjfiS5_IjLj3EEiiiiiiiiiiiliiliiiiil
; %bb.0:
	s_clause 0x1
	s_load_b128 s[20:23], s[0:1], 0x5c
	s_load_b64 s[30:31], s[0:1], 0x80
	s_lshr_b32 s5, ttmp7, 16
	s_load_b64 s[36:37], s[0:1], 0xb8
	s_mov_b64 s[34:35], 0
	s_wait_kmcnt 0x0
	s_ashr_i32 s2, s23, 31
	s_delay_alu instid0(SALU_CYCLE_1) | instskip(NEXT) | instid1(SALU_CYCLE_1)
	s_lshr_b32 s2, s2, 29
	s_add_co_i32 s2, s23, s2
	s_delay_alu instid0(SALU_CYCLE_1) | instskip(NEXT) | instid1(SALU_CYCLE_1)
	s_ashr_i32 s2, s2, 3
	s_cvt_f32_u32 s3, s2
	s_sub_co_i32 s4, 0, s2
	s_delay_alu instid0(SALU_CYCLE_2) | instskip(NEXT) | instid1(TRANS32_DEP_1)
	v_rcp_iflag_f32_e32 v1, s3
	v_readfirstlane_b32 s3, v1
	s_mul_f32 s3, s3, 0x4f7ffffe
	s_wait_alu 0xfffe
	s_delay_alu instid0(SALU_CYCLE_2) | instskip(SKIP_1) | instid1(SALU_CYCLE_2)
	s_cvt_u32_f32 s3, s3
	s_wait_alu 0xfffe
	s_mul_i32 s4, s4, s3
	s_delay_alu instid0(SALU_CYCLE_1) | instskip(NEXT) | instid1(SALU_CYCLE_1)
	s_mul_hi_u32 s4, s3, s4
	s_add_co_i32 s3, s3, s4
	s_wait_alu 0xfffe
	s_mul_hi_u32 s3, s5, s3
	s_wait_alu 0xfffe
	s_mul_i32 s4, s3, s2
	s_add_co_i32 s6, s3, 1
	s_sub_co_i32 s4, s5, s4
	s_delay_alu instid0(SALU_CYCLE_1)
	s_sub_co_i32 s7, s4, s2
	s_cmp_ge_u32 s4, s2
	s_cselect_b32 s3, s6, s3
	s_cselect_b32 s4, s7, s4
	s_wait_alu 0xfffe
	s_add_co_i32 s6, s3, 1
	s_cmp_ge_u32 s4, s2
	s_cselect_b32 s28, s6, s3
	s_abs_i32 s2, s31
	s_abs_i32 s7, s23
	s_wait_alu 0xfffe
	s_cvt_f32_u32 s3, s2
	s_sub_co_i32 s4, 0, s2
	s_lshl_b32 s5, s5, 3
	s_mul_i32 s6, s28, s23
	s_wait_alu 0xfffe
	v_rcp_iflag_f32_e32 v1, s3
	s_sub_co_i32 s33, s5, s6
	s_delay_alu instid0(TRANS32_DEP_1) | instskip(SKIP_2) | instid1(SALU_CYCLE_2)
	v_readfirstlane_b32 s3, v1
	s_mul_f32 s3, s3, 0x4f7ffffe
	s_wait_alu 0xfffe
	s_cvt_u32_f32 s3, s3
	s_wait_alu 0xfffe
	s_delay_alu instid0(SALU_CYCLE_2) | instskip(NEXT) | instid1(SALU_CYCLE_1)
	s_mul_i32 s4, s4, s3
	s_mul_hi_u32 s4, s3, s4
	s_delay_alu instid0(SALU_CYCLE_1)
	s_add_co_i32 s3, s3, s4
	s_xor_b32 s4, s23, s31
	s_wait_alu 0xfffe
	s_mul_hi_u32 s3, s7, s3
	s_ashr_i32 s24, s4, 31
	s_wait_alu 0xfffe
	s_mul_i32 s5, s3, s2
	s_delay_alu instid0(SALU_CYCLE_1)
	s_sub_co_i32 s4, s7, s5
	s_add_co_i32 s5, s3, 1
	s_sub_co_i32 s6, s4, s2
	s_cmp_ge_u32 s4, s2
	s_cselect_b32 s3, s5, s3
	s_cselect_b32 s4, s6, s4
	s_wait_alu 0xfffe
	s_add_co_i32 s5, s3, 1
	s_cmp_ge_u32 s4, s2
	s_cselect_b32 s2, s5, s3
	s_load_b512 s[4:19], s[0:1], 0x0
	s_xor_b32 s2, s2, s24
	s_mov_b32 s3, 0
	s_wait_alu 0xfffe
	s_sub_co_i32 s38, s2, s24
	s_delay_alu instid0(SALU_CYCLE_1) | instskip(NEXT) | instid1(SALU_CYCLE_1)
	s_abs_i32 s31, s38
	s_cvt_f32_u32 s2, s31
	s_wait_alu 0xfffe
	s_delay_alu instid0(SALU_CYCLE_2) | instskip(SKIP_2) | instid1(TRANS32_DEP_1)
	v_rcp_iflag_f32_e32 v1, s2
	s_wait_kmcnt 0x0
	s_cmp_eq_u64 s[10:11], 0
	v_readfirstlane_b32 s24, v1
	s_cbranch_scc1 .LBB13_2
; %bb.1:
	s_abs_i32 s2, s36
	s_wait_alu 0xfffe
	s_cvt_f32_u32 s25, s2
	s_sub_co_i32 s26, 0, s2
	s_delay_alu instid0(SALU_CYCLE_2) | instskip(NEXT) | instid1(TRANS32_DEP_1)
	v_rcp_iflag_f32_e32 v1, s25
	v_readfirstlane_b32 s25, v1
	s_mul_f32 s25, s25, 0x4f7ffffe
	s_wait_alu 0xfffe
	s_delay_alu instid0(SALU_CYCLE_2) | instskip(SKIP_1) | instid1(SALU_CYCLE_2)
	s_cvt_u32_f32 s25, s25
	s_wait_alu 0xfffe
	s_mul_i32 s26, s26, s25
	s_delay_alu instid0(SALU_CYCLE_1)
	s_mul_hi_u32 s29, s25, s26
	s_load_b64 s[26:27], s[0:1], 0xc8
	s_add_co_i32 s25, s25, s29
	s_wait_alu 0xfffe
	s_mul_hi_u32 s25, s28, s25
	s_wait_alu 0xfffe
	s_mul_i32 s25, s25, s2
	s_wait_alu 0xfffe
	s_sub_co_i32 s25, s28, s25
	s_wait_alu 0xfffe
	s_sub_co_i32 s29, s25, s2
	s_cmp_ge_u32 s25, s2
	s_cselect_b32 s25, s29, s25
	s_wait_alu 0xfffe
	s_sub_co_i32 s29, s25, s2
	s_cmp_ge_u32 s25, s2
	s_cselect_b32 s34, s29, s25
	s_delay_alu instid0(SALU_CYCLE_1) | instskip(SKIP_2) | instid1(SALU_CYCLE_1)
	s_ashr_i32 s35, s34, 31
	s_wait_kmcnt 0x0
	s_mul_u64 s[26:27], s[26:27], s[34:35]
	s_add_nc_u64 s[34:35], s[10:11], s[26:27]
.LBB13_2:
	v_lshrrev_b32_e32 v1, 10, v0
	s_load_b96 s[40:42], s[0:1], 0x70
	v_bfe_u32 v4, v0, 10, 10
	v_and_b32_e32 v0, 0x3ff, v0
	s_delay_alu instid0(VALU_DEP_3) | instskip(NEXT) | instid1(VALU_DEP_3)
	v_bfe_u32 v1, v1, 2, 8
	v_lshlrev_b32_e32 v6, 1, v4
	s_delay_alu instid0(VALU_DEP_3) | instskip(NEXT) | instid1(VALU_DEP_3)
	v_lshlrev_b32_e32 v26, 3, v0
	v_lshl_add_u32 v1, ttmp9, 1, v1
	s_delay_alu instid0(VALU_DEP_3) | instskip(NEXT) | instid1(VALU_DEP_2)
	v_and_b32_e32 v9, 6, v6
	v_mul_hi_u32 v2, s20, v1
	s_wait_kmcnt 0x0
	s_mul_i32 s20, s33, s41
	s_ashr_i32 s27, s41, 31
	s_delay_alu instid0(VALU_DEP_1) | instskip(SKIP_2) | instid1(SALU_CYCLE_1)
	v_add_nc_u32_e32 v2, v1, v2
	s_mov_b32 s26, s41
	s_ashr_i32 s41, s40, 31
	s_lshr_b64 s[10:11], s[40:41], 2
	s_delay_alu instid0(VALU_DEP_1) | instskip(SKIP_3) | instid1(VALU_DEP_1)
	v_lshrrev_b32_e32 v2, s21, v2
	s_lshr_b32 s2, s41, 2
	s_wait_alu 0xfffe
	s_ashr_i32 s21, s20, 31
	v_mul_lo_u32 v2, v2, s22
	s_delay_alu instid0(VALU_DEP_1) | instskip(NEXT) | instid1(VALU_DEP_1)
	v_sub_nc_u32_e32 v5, v1, v2
	v_mad_co_u64_u32 v[2:3], null, s10, v5, 0
	s_lshr_b64 s[10:11], s[26:27], 2
	s_mul_i32 s26, s28, s42
	s_wait_alu 0xfffe
	v_mad_co_u64_u32 v[7:8], null, s10, v9, 0
	v_mad_co_u64_u32 v[10:11], null, s2, v5, v[3:4]
	s_lshr_b32 s2, s27, 2
	s_ashr_i32 s27, s26, 31
	s_delay_alu instid0(SALU_CYCLE_1) | instskip(NEXT) | instid1(SALU_CYCLE_1)
	s_add_nc_u64 s[4:5], s[4:5], s[26:27]
	s_add_nc_u64 s[4:5], s[4:5], s[20:21]
	v_mov_b32_e32 v3, v10
	s_wait_alu 0xfffe
	v_mad_co_u64_u32 v[10:11], null, s2, v9, v[8:9]
	v_lshlrev_b32_e32 v11, 4, v0
	s_delay_alu instid0(VALU_DEP_3) | instskip(NEXT) | instid1(VALU_DEP_3)
	v_lshlrev_b64_e32 v[2:3], 2, v[2:3]
	v_mov_b32_e32 v8, v10
	s_delay_alu instid0(VALU_DEP_2) | instskip(NEXT) | instid1(VALU_DEP_1)
	v_add_co_u32 v10, vcc_lo, s4, v2
	v_add_co_ci_u32_e64 v12, null, s5, v3, vcc_lo
	s_delay_alu instid0(VALU_DEP_3) | instskip(NEXT) | instid1(VALU_DEP_3)
	v_lshlrev_b64_e32 v[2:3], 2, v[7:8]
	v_add_co_u32 v8, vcc_lo, v10, v11
	s_wait_alu 0xfffd
	s_delay_alu instid0(VALU_DEP_3)
	v_add_co_ci_u32_e64 v10, null, 0, v12, vcc_lo
	s_load_b32 s4, s[0:1], 0x40
	v_add_co_u32 v2, vcc_lo, v8, v2
	s_wait_alu 0xfffd
	v_add_co_ci_u32_e64 v3, null, v10, v3, vcc_lo
	v_cmp_gt_u32_e32 vcc_lo, 16, v0
	global_load_b128 v[11:14], v[2:3], off
	s_wait_loadcnt 0x0
	s_wait_kmcnt 0x0
	v_fma_mixlo_f16 v7, s4, v12, 0
	v_fma_mixlo_f16 v11, s4, v11, 0
	;; [unrolled: 1-line block ×4, first 2 shown]
	v_mad_u32_u24 v14, 0x300, v4, v26
	v_lshlrev_b32_e32 v7, 16, v7
	v_and_b32_e32 v11, 0xffff, v11
	v_and_b32_e32 v12, 0xffff, v12
	v_lshlrev_b32_e32 v13, 16, v13
	s_delay_alu instid0(VALU_DEP_3) | instskip(SKIP_1) | instid1(VALU_DEP_3)
	v_or_b32_e32 v11, v7, v11
	v_mul_u32_u24_e32 v7, 0x300, v4
	v_or3_b32 v12, v13, v12, 0
	s_delay_alu instid0(VALU_DEP_3)
	v_or3_b32 v11, 0, 0, v11
	ds_store_b64 v14, v[11:12]
	s_and_saveexec_b32 s2, vcc_lo
	s_cbranch_execz .LBB13_4
; %bb.3:
	global_load_b128 v[11:14], v[2:3], off offset:512
	s_wait_loadcnt 0x0
	v_fma_mixlo_f16 v2, s4, v12, 0
	v_fma_mixlo_f16 v3, s4, v11, 0
	;; [unrolled: 1-line block ×4, first 2 shown]
	s_delay_alu instid0(VALU_DEP_4) | instskip(NEXT) | instid1(VALU_DEP_4)
	v_lshlrev_b32_e32 v2, 16, v2
	v_and_b32_e32 v3, 0xffff, v3
	s_delay_alu instid0(VALU_DEP_4) | instskip(NEXT) | instid1(VALU_DEP_4)
	v_and_b32_e32 v11, 0xffff, v11
	v_lshlrev_b32_e32 v12, 16, v12
	s_delay_alu instid0(VALU_DEP_3) | instskip(NEXT) | instid1(VALU_DEP_2)
	v_or_b32_e32 v2, v2, v3
	v_or3_b32 v3, v12, v11, 0
	v_add_nc_u32_e32 v11, v26, v7
	s_delay_alu instid0(VALU_DEP_3)
	v_or3_b32 v2, 0, 0, v2
	ds_store_b64 v11, v[2:3] offset:256
.LBB13_4:
	s_wait_alu 0xfffe
	s_or_b32 exec_lo, exec_lo, s2
	v_or_b32_e32 v11, 1, v6
	s_delay_alu instid0(VALU_DEP_1) | instskip(NEXT) | instid1(VALU_DEP_1)
	v_and_b32_e32 v12, 7, v11
	v_mad_co_u64_u32 v[2:3], null, s10, v12, 0
	s_delay_alu instid0(VALU_DEP_1) | instskip(NEXT) | instid1(VALU_DEP_1)
	v_mad_co_u64_u32 v[12:13], null, s11, v12, v[3:4]
	v_mov_b32_e32 v3, v12
	s_delay_alu instid0(VALU_DEP_1) | instskip(NEXT) | instid1(VALU_DEP_1)
	v_lshlrev_b64_e32 v[2:3], 2, v[2:3]
	v_add_co_u32 v2, s2, v8, v2
	s_wait_alu 0xf1ff
	s_delay_alu instid0(VALU_DEP_2)
	v_add_co_ci_u32_e64 v3, null, v10, v3, s2
	global_load_b128 v[12:15], v[2:3], off
	s_wait_loadcnt 0x0
	v_fma_mixlo_f16 v8, s4, v13, 0
	v_fma_mixlo_f16 v10, s4, v12, 0
	v_fma_mixlo_f16 v12, s4, v14, 0
	v_fma_mixlo_f16 v13, s4, v15, 0
	s_delay_alu instid0(VALU_DEP_4) | instskip(NEXT) | instid1(VALU_DEP_4)
	v_lshlrev_b32_e32 v8, 16, v8
	v_and_b32_e32 v10, 0xffff, v10
	s_delay_alu instid0(VALU_DEP_4) | instskip(NEXT) | instid1(VALU_DEP_4)
	v_and_b32_e32 v12, 0xffff, v12
	v_lshlrev_b32_e32 v13, 16, v13
	s_delay_alu instid0(VALU_DEP_3) | instskip(SKIP_1) | instid1(VALU_DEP_3)
	v_or_b32_e32 v8, v8, v10
	v_mad_u32_u24 v10, 0x180, v11, v26
	v_or3_b32 v13, v13, v12, 0
	s_delay_alu instid0(VALU_DEP_3)
	v_or3_b32 v12, 0, 0, v8
	ds_store_b64 v10, v[12:13]
	s_and_saveexec_b32 s2, vcc_lo
	s_cbranch_execz .LBB13_6
; %bb.5:
	global_load_b128 v[12:15], v[2:3], off offset:512
	v_mul_u32_u24_e32 v11, 0x180, v11
	s_wait_loadcnt 0x0
	v_fma_mixlo_f16 v2, s4, v13, 0
	v_fma_mixlo_f16 v3, s4, v12, 0
	;; [unrolled: 1-line block ×4, first 2 shown]
	s_delay_alu instid0(VALU_DEP_4) | instskip(NEXT) | instid1(VALU_DEP_4)
	v_lshlrev_b32_e32 v2, 16, v2
	v_and_b32_e32 v3, 0xffff, v3
	s_delay_alu instid0(VALU_DEP_4) | instskip(NEXT) | instid1(VALU_DEP_4)
	v_and_b32_e32 v8, 0xffff, v8
	v_lshlrev_b32_e32 v10, 16, v10
	s_delay_alu instid0(VALU_DEP_3) | instskip(NEXT) | instid1(VALU_DEP_2)
	v_or_b32_e32 v2, v2, v3
	v_or3_b32 v3, v10, v8, 0
	v_add_nc_u32_e32 v8, v26, v11
	s_delay_alu instid0(VALU_DEP_3)
	v_or3_b32 v2, 0, 0, v2
	ds_store_b64 v8, v[2:3] offset:256
.LBB13_6:
	s_wait_alu 0xfffe
	s_or_b32 exec_lo, exec_lo, s2
	s_cmp_eq_u64 s[14:15], 0
	s_wait_dscnt 0x0
	s_barrier_signal -1
	s_barrier_wait -1
	global_inv scope:SCOPE_SE
	s_cbranch_scc1 .LBB13_8
; %bb.7:
	s_load_b32 s2, s[0:1], 0xd0
	s_mov_b32 s5, 0
	s_wait_kmcnt 0x0
	s_mul_i32 s2, s2, s28
	s_wait_alu 0xfffe
	s_add_co_i32 s4, s2, ttmp9
	s_wait_alu 0xfffe
	s_lshl_b64 s[4:5], s[4:5], 2
	s_wait_alu 0xfffe
	s_add_nc_u64 s[4:5], s[14:15], s[4:5]
	s_load_b32 s30, s[4:5], 0x0
.LBB13_8:
	s_and_b32 s10, ttmp7, 0xffff
	v_mbcnt_lo_u32_b32 v8, -1, 0
	s_wait_alu 0xfffe
	s_lshl_b32 s14, s10, 5
	s_wait_kmcnt 0x0
	s_cmp_lt_i32 s14, s30
	s_cbranch_scc1 .LBB13_11
; %bb.9:
	v_mbcnt_lo_u32_b32 v2, -1, 0
	v_mov_b32_e32 v11, 32
	s_delay_alu instid0(VALU_DEP_2)
	v_xor_b32_e32 v16, 16, v2
	v_xor_b32_e32 v15, 8, v2
	;; [unrolled: 1-line block ×5, first 2 shown]
	v_lshlrev_b32_e32 v10, 2, v0
	s_mov_b32 s29, 0
	s_cbranch_execz .LBB13_12
; %bb.10:
	v_dual_mov_b32 v30, 0 :: v_dual_mov_b32 v31, 0
	v_dual_mov_b32 v4, 0xfeffffff :: v_dual_mov_b32 v3, 0xfeffffff
	;; [unrolled: 1-line block ×4, first 2 shown]
	s_branch .LBB13_15
.LBB13_11:
                                        ; implicit-def: $vgpr2
                                        ; implicit-def: $vgpr11
                                        ; implicit-def: $vgpr16
                                        ; implicit-def: $vgpr15
                                        ; implicit-def: $vgpr14
                                        ; implicit-def: $vgpr13
                                        ; implicit-def: $vgpr12
	v_lshlrev_b32_e32 v10, 2, v0
	s_mov_b32 s29, 0
.LBB13_12:
	s_mul_f32 s2, s24, 0x4f7ffffe
	s_clause 0x1
	s_load_b128 s[24:27], s[0:1], 0x98
	s_load_b64 s[4:5], s[0:1], 0x8c
	s_sub_co_i32 s15, 0, s31
	v_lshrrev_b32_e32 v2, 3, v0
	s_cvt_u32_f32 s11, s2
	s_abs_i32 s2, s33
	s_mov_b32 s21, s3
	s_ashr_i32 s36, s33, 31
	s_wait_alu 0xfffe
	s_mul_i32 s15, s15, s11
	v_lshl_add_u32 v12, v4, 2, v2
	s_mul_hi_u32 s15, s11, s15
	s_ashr_i32 s40, s38, 31
	s_add_co_i32 s20, s11, s15
	s_ashr_i32 s11, s37, 1
	s_wait_alu 0xfffe
	s_mul_u64 s[20:21], s[2:3], s[20:21]
	s_xor_b32 s15, s36, s40
	s_wait_alu 0xfffe
	s_mul_i32 s3, s21, s31
	s_add_co_i32 s36, s21, 1
	s_wait_alu 0xfffe
	s_sub_co_i32 s2, s2, s3
	v_dual_mov_b32 v32, 0 :: v_dual_and_b32 v13, 28, v10
	s_wait_kmcnt 0x0
	s_ashr_i32 s20, s26, 2
	s_ashr_i32 s26, s4, 2
	s_wait_alu 0xfffe
	s_sub_co_i32 s3, s2, s31
	s_cmp_ge_u32 s2, s31
	v_mul_lo_u32 v2, s26, v12
	s_cselect_b32 s4, s36, s21
	s_wait_alu 0xfffe
	s_cselect_b32 s2, s3, s2
	s_add_co_i32 s21, s4, 1
	s_wait_alu 0xfffe
	s_cmp_ge_u32 s2, s31
	s_mul_u64 s[2:3], s[24:25], s[28:29]
	s_cselect_b32 s4, s21, s4
	s_wait_alu 0xfffe
	s_add_nc_u64 s[2:3], s[6:7], s[2:3]
	v_ashrrev_i32_e32 v3, 31, v2
	s_xor_b32 s4, s4, s15
	v_lshrrev_b32_e32 v11, 4, v0
	s_wait_alu 0xfffe
	s_sub_co_i32 s15, s4, s15
	v_mul_u32_u24_e32 v12, 0x90, v12
	s_mul_i32 s4, s15, s5
	v_lshlrev_b64_e32 v[2:3], 2, v[2:3]
	s_wait_alu 0xfffe
	s_ashr_i32 s5, s4, 31
	v_dual_mov_b32 v28, 0 :: v_dual_lshlrev_b32 v13, 2, v13
	s_wait_alu 0xfffe
	s_add_nc_u64 s[2:3], s[2:3], s[4:5]
	v_dual_mov_b32 v27, 0 :: v_dual_and_b32 v14, 60, v10
	s_wait_alu 0xfffe
	v_add_co_u32 v2, vcc_lo, s2, v2
	s_wait_alu 0xfffd
	v_add_co_ci_u32_e64 v3, null, s3, v3, vcc_lo
	v_add_nc_u32_e32 v6, v11, v6
	v_add3_u32 v17, v12, v13, 0x1800
	v_add_co_u32 v18, vcc_lo, v2, v13
	v_dual_mov_b32 v30, 0 :: v_dual_lshlrev_b32 v13, 2, v14
	s_load_b64 s[38:39], s[0:1], 0xa8
	v_add_co_ci_u32_e64 v19, null, 0, v3, vcc_lo
	v_mad_co_u64_u32 v[2:3], null, v5, s11, v[0:1]
	s_delay_alu instid0(VALU_DEP_3)
	v_lshl_or_b32 v3, v6, 8, v13
	v_lshl_add_u32 v21, v4, 7, 0x2a00
	v_xor_b32_e32 v16, 16, v8
	v_xor_b32_e32 v15, 8, v8
	;; [unrolled: 1-line block ×3, first 2 shown]
	v_add_nc_u32_e32 v22, 0x1800, v3
	v_mov_b32_e32 v3, 0xfeffffff
	v_mul_lo_u32 v11, s20, v6
	v_add_nc_u32_e32 v25, 0x1800, v26
	v_dual_mov_b32 v29, 0 :: v_dual_add_nc_u32 v26, 0x2000, v26
	s_ashr_i32 s21, s20, 31
	v_mov_b32_e32 v31, 0
	s_delay_alu instid0(VALU_DEP_4)
	v_ashrrev_i32_e32 v12, 31, v11
	s_wait_kmcnt 0x0
	s_mul_u64 s[24:25], s[38:39], s[28:29]
	s_wait_alu 0xfffe
	s_add_nc_u64 s[6:7], s[8:9], s[24:25]
	s_mul_i32 s8, s15, s27
	v_lshlrev_b64_e32 v[11:12], 2, v[11:12]
	s_ashr_i32 s9, s8, 31
	s_ashr_i32 s27, s26, 31
	s_add_nc_u64 s[4:5], s[6:7], s[8:9]
	s_movk_i32 s6, 0x1800
	s_wait_alu 0xfffe
	v_add_co_u32 v4, vcc_lo, s4, v11
	s_wait_alu 0xfffd
	v_add_co_ci_u32_e64 v5, null, s5, v12, vcc_lo
	v_mad_u32_u24 v20, 0x90, v0, s6
	s_delay_alu instid0(VALU_DEP_3) | instskip(SKIP_1) | instid1(VALU_DEP_3)
	v_add_co_u32 v23, vcc_lo, v4, v13
	s_wait_alu 0xfffd
	v_add_co_ci_u32_e64 v24, null, 0, v5, vcc_lo
	v_mov_b32_e32 v11, 32
	v_xor_b32_e32 v13, 2, v8
	v_xor_b32_e32 v12, 1, v8
	v_mov_b32_e32 v4, 0xfeffffff
	s_add_nc_u64 s[6:7], s[0:1], 0xd0
.LBB13_13:                              ; =>This Inner Loop Header: Depth=1
	s_ashr_i32 s15, s14, 31
	v_dual_mov_b32 v33, 0 :: v_dual_mov_b32 v34, 0
	s_wait_alu 0xfffe
	s_mul_u64 s[2:3], s[14:15], s[26:27]
	s_mul_u64 s[4:5], s[14:15], s[20:21]
	s_wait_alu 0xfffe
	s_lshl_b64 s[2:3], s[2:3], 2
	s_lshl_b64 s[4:5], s[4:5], 2
	s_wait_alu 0xfffe
	v_add_co_u32 v5, vcc_lo, v18, s2
	s_wait_alu 0xfffd
	v_add_co_ci_u32_e64 v6, null, s3, v19, vcc_lo
	s_or_b32 s2, s14, 16
	s_wait_alu 0xfffe
	s_ashr_i32 s3, s2, 31
	global_load_b128 v[35:38], v[5:6], off
	s_wait_alu 0xfffe
	s_mul_u64 s[2:3], s[2:3], s[20:21]
	s_wait_alu 0xfffe
	s_lshl_b64 s[2:3], s[2:3], 2
	s_wait_loadcnt 0x0
	ds_store_b128 v17, v[35:38]
	s_wait_dscnt 0x0
	s_barrier_signal -1
	s_barrier_wait -1
	global_inv scope:SCOPE_SE
	ds_load_b128 v[35:38], v20
	ds_load_b128 v[39:42], v7
	ds_load_b128 v[43:46], v7 offset:384
	s_wait_dscnt 0x1
	;;#ASMSTART
	v_dot2_f32_f16 v33, v35, v39, v33
	;;#ASMEND
	;;#ASMSTART
	v_dot2_f32_f16 v33, v36, v40, v33
	;;#ASMEND
	;;#ASMSTART
	v_dot2_f32_f16 v33, v37, v41, v33
	;;#ASMEND
	;;#ASMSTART
	v_dot2_f32_f16 v33, v38, v42, v33
	;;#ASMEND
	s_wait_dscnt 0x0
	;;#ASMSTART
	v_dot2_f32_f16 v34, v35, v43, v34
	;;#ASMEND
	;;#ASMSTART
	v_dot2_f32_f16 v34, v36, v44, v34
	;;#ASMEND
	;;#ASMSTART
	v_dot2_f32_f16 v34, v37, v45, v34
	;;#ASMEND
	;;#ASMSTART
	v_dot2_f32_f16 v34, v38, v46, v34
	;;#ASMEND
	ds_load_b128 v[35:38], v20 offset:16
	ds_load_b128 v[39:42], v7 offset:16
	ds_load_b128 v[43:46], v7 offset:400
	s_wait_dscnt 0x1
	;;#ASMSTART
	v_dot2_f32_f16 v33, v35, v39, v33
	;;#ASMEND
	;;#ASMSTART
	v_dot2_f32_f16 v33, v36, v40, v33
	;;#ASMEND
	;;#ASMSTART
	v_dot2_f32_f16 v33, v37, v41, v33
	;;#ASMEND
	;;#ASMSTART
	v_dot2_f32_f16 v33, v38, v42, v33
	;;#ASMEND
	s_wait_dscnt 0x0
	;;#ASMSTART
	v_dot2_f32_f16 v34, v35, v43, v34
	;;#ASMEND
	;;#ASMSTART
	v_dot2_f32_f16 v34, v36, v44, v34
	;;#ASMEND
	;;#ASMSTART
	v_dot2_f32_f16 v34, v37, v45, v34
	;;#ASMEND
	;;#ASMSTART
	v_dot2_f32_f16 v34, v38, v46, v34
	;;#ASMEND
	ds_load_b128 v[35:38], v20 offset:32
	ds_load_b128 v[39:42], v7 offset:32
	;; [unrolled: 29-line block ×7, first 2 shown]
	ds_load_b128 v[43:46], v7 offset:496
	s_wait_dscnt 0x1
	;;#ASMSTART
	v_dot2_f32_f16 v33, v35, v39, v33
	;;#ASMEND
	;;#ASMSTART
	v_dot2_f32_f16 v33, v36, v40, v33
	;;#ASMEND
	;; [unrolled: 3-line block ×4, first 2 shown]
	s_wait_dscnt 0x0
	;;#ASMSTART
	v_dot2_f32_f16 v34, v35, v43, v34
	;;#ASMEND
	;;#ASMSTART
	v_dot2_f32_f16 v34, v36, v44, v34
	;;#ASMEND
	;; [unrolled: 3-line block ×4, first 2 shown]
	s_wait_loadcnt 0x0
	s_barrier_signal -1
	s_barrier_wait -1
	global_inv scope:SCOPE_SE
	global_load_b128 v[35:38], v[5:6], off offset:128
	s_wait_loadcnt 0x0
	ds_store_b128 v17, v[35:38]
	s_wait_dscnt 0x0
	s_barrier_signal -1
	s_barrier_wait -1
	global_inv scope:SCOPE_SE
	ds_load_b128 v[35:38], v20
	ds_load_b128 v[39:42], v7 offset:128
	ds_load_b128 v[43:46], v7 offset:512
	s_wait_dscnt 0x1
	;;#ASMSTART
	v_dot2_f32_f16 v33, v35, v39, v33
	;;#ASMEND
	;;#ASMSTART
	v_dot2_f32_f16 v33, v36, v40, v33
	;;#ASMEND
	;;#ASMSTART
	v_dot2_f32_f16 v33, v37, v41, v33
	;;#ASMEND
	;;#ASMSTART
	v_dot2_f32_f16 v33, v38, v42, v33
	;;#ASMEND
	s_wait_dscnt 0x0
	;;#ASMSTART
	v_dot2_f32_f16 v34, v35, v43, v34
	;;#ASMEND
	;;#ASMSTART
	v_dot2_f32_f16 v34, v36, v44, v34
	;;#ASMEND
	;;#ASMSTART
	v_dot2_f32_f16 v34, v37, v45, v34
	;;#ASMEND
	;;#ASMSTART
	v_dot2_f32_f16 v34, v38, v46, v34
	;;#ASMEND
	ds_load_b128 v[35:38], v20 offset:16
	ds_load_b128 v[39:42], v7 offset:144
	ds_load_b128 v[43:46], v7 offset:528
	s_wait_dscnt 0x1
	;;#ASMSTART
	v_dot2_f32_f16 v33, v35, v39, v33
	;;#ASMEND
	;;#ASMSTART
	v_dot2_f32_f16 v33, v36, v40, v33
	;;#ASMEND
	;;#ASMSTART
	v_dot2_f32_f16 v33, v37, v41, v33
	;;#ASMEND
	;;#ASMSTART
	v_dot2_f32_f16 v33, v38, v42, v33
	;;#ASMEND
	s_wait_dscnt 0x0
	;;#ASMSTART
	v_dot2_f32_f16 v34, v35, v43, v34
	;;#ASMEND
	;;#ASMSTART
	v_dot2_f32_f16 v34, v36, v44, v34
	;;#ASMEND
	;;#ASMSTART
	v_dot2_f32_f16 v34, v37, v45, v34
	;;#ASMEND
	;;#ASMSTART
	v_dot2_f32_f16 v34, v38, v46, v34
	;;#ASMEND
	ds_load_b128 v[35:38], v20 offset:32
	;; [unrolled: 29-line block ×7, first 2 shown]
	ds_load_b128 v[39:42], v7 offset:240
	ds_load_b128 v[43:46], v7 offset:624
	s_wait_dscnt 0x1
	;;#ASMSTART
	v_dot2_f32_f16 v33, v35, v39, v33
	;;#ASMEND
	;;#ASMSTART
	v_dot2_f32_f16 v33, v36, v40, v33
	;;#ASMEND
	;; [unrolled: 3-line block ×4, first 2 shown]
	s_wait_dscnt 0x0
	;;#ASMSTART
	v_dot2_f32_f16 v34, v35, v43, v34
	;;#ASMEND
	;;#ASMSTART
	v_dot2_f32_f16 v34, v36, v44, v34
	;;#ASMEND
	;; [unrolled: 3-line block ×4, first 2 shown]
	s_wait_loadcnt 0x0
	s_barrier_signal -1
	s_barrier_wait -1
	global_inv scope:SCOPE_SE
	global_load_b128 v[35:38], v[5:6], off offset:256
	v_add_nc_u32_e32 v5, s14, v2
	s_delay_alu instid0(VALU_DEP_1) | instskip(NEXT) | instid1(VALU_DEP_1)
	v_ashrrev_i32_e32 v6, 31, v5
	v_lshlrev_b64_e32 v[5:6], 1, v[5:6]
	s_delay_alu instid0(VALU_DEP_1) | instskip(SKIP_1) | instid1(VALU_DEP_2)
	v_add_co_u32 v5, vcc_lo, s34, v5
	s_wait_alu 0xfffd
	v_add_co_ci_u32_e64 v6, null, s35, v6, vcc_lo
	v_cmp_gt_i32_e32 vcc_lo, 32, v16
	s_wait_loadcnt 0x0
	ds_store_b128 v17, v[35:38]
	s_wait_dscnt 0x0
	s_barrier_signal -1
	s_barrier_wait -1
	global_inv scope:SCOPE_SE
	ds_load_b128 v[35:38], v20
	ds_load_b128 v[39:42], v7 offset:256
	ds_load_b128 v[43:46], v7 offset:640
	s_wait_dscnt 0x1
	;;#ASMSTART
	v_dot2_f32_f16 v33, v35, v39, v33
	;;#ASMEND
	;;#ASMSTART
	v_dot2_f32_f16 v33, v36, v40, v33
	;;#ASMEND
	;;#ASMSTART
	v_dot2_f32_f16 v33, v37, v41, v33
	;;#ASMEND
	;;#ASMSTART
	v_dot2_f32_f16 v33, v38, v42, v33
	;;#ASMEND
	s_wait_dscnt 0x0
	;;#ASMSTART
	v_dot2_f32_f16 v34, v35, v43, v34
	;;#ASMEND
	;;#ASMSTART
	v_dot2_f32_f16 v34, v36, v44, v34
	;;#ASMEND
	;;#ASMSTART
	v_dot2_f32_f16 v34, v37, v45, v34
	;;#ASMEND
	;;#ASMSTART
	v_dot2_f32_f16 v34, v38, v46, v34
	;;#ASMEND
	ds_load_b128 v[35:38], v20 offset:16
	ds_load_b128 v[39:42], v7 offset:272
	ds_load_b128 v[43:46], v7 offset:656
	s_wait_dscnt 0x1
	;;#ASMSTART
	v_dot2_f32_f16 v33, v35, v39, v33
	;;#ASMEND
	;;#ASMSTART
	v_dot2_f32_f16 v33, v36, v40, v33
	;;#ASMEND
	;;#ASMSTART
	v_dot2_f32_f16 v33, v37, v41, v33
	;;#ASMEND
	;;#ASMSTART
	v_dot2_f32_f16 v33, v38, v42, v33
	;;#ASMEND
	s_wait_dscnt 0x0
	;;#ASMSTART
	v_dot2_f32_f16 v34, v35, v43, v34
	;;#ASMEND
	;;#ASMSTART
	v_dot2_f32_f16 v34, v36, v44, v34
	;;#ASMEND
	;;#ASMSTART
	v_dot2_f32_f16 v34, v37, v45, v34
	;;#ASMEND
	;;#ASMSTART
	v_dot2_f32_f16 v34, v38, v46, v34
	;;#ASMEND
	ds_load_b128 v[35:38], v20 offset:32
	;; [unrolled: 29-line block ×7, first 2 shown]
	ds_load_b128 v[39:42], v7 offset:368
	ds_load_b128 v[43:46], v7 offset:752
	s_wait_dscnt 0x1
	;;#ASMSTART
	v_dot2_f32_f16 v33, v35, v39, v33
	;;#ASMEND
	;;#ASMSTART
	v_dot2_f32_f16 v33, v36, v40, v33
	;;#ASMEND
	;; [unrolled: 3-line block ×4, first 2 shown]
	s_wait_dscnt 0x0
	;;#ASMSTART
	v_dot2_f32_f16 v34, v35, v43, v34
	;;#ASMEND
	;;#ASMSTART
	v_dot2_f32_f16 v34, v36, v44, v34
	;;#ASMEND
	;; [unrolled: 3-line block ×4, first 2 shown]
	global_load_u16 v35, v[5:6], off
	v_dual_mov_b32 v5, v32 :: v_dual_mov_b32 v32, v3
	s_wait_alu 0xfffd
	v_dual_mov_b32 v40, v31 :: v_dual_cndmask_b32 v3, v8, v16
	v_cmp_gt_i32_e32 vcc_lo, 32, v15
	v_dual_mov_b32 v6, v4 :: v_dual_add_nc_u32 v41, v21, v10
	s_wait_loadcnt 0x0
	s_delay_alu instid0(VALU_DEP_3)
	v_lshlrev_b32_e32 v44, 2, v3
	s_wait_alu 0xfffd
	v_cndmask_b32_e32 v4, v8, v15, vcc_lo
	v_cmp_gt_i32_e32 vcc_lo, 32, v14
	v_max_num_f32_e32 v43, v6, v6
	s_barrier_signal -1
	s_barrier_wait -1
	v_lshlrev_b32_e32 v45, 2, v4
	s_wait_alu 0xfffd
	v_cndmask_b32_e32 v31, v8, v14, vcc_lo
	v_cmp_gt_i32_e32 vcc_lo, 32, v13
	global_inv scope:SCOPE_SE
	v_dual_max_num_f32 v42, v32, v32 :: v_dual_lshlrev_b32 v31, 2, v31
	s_wait_alu 0xfffd
	v_cndmask_b32_e32 v36, v8, v13, vcc_lo
	v_cmp_gt_i32_e32 vcc_lo, 32, v12
	s_delay_alu instid0(VALU_DEP_2)
	v_lshlrev_b32_e32 v46, 2, v36
	s_wait_alu 0xfffd
	v_cndmask_b32_e32 v37, v8, v12, vcc_lo
	v_add_co_u32 v3, vcc_lo, v23, s4
	s_wait_alu 0xfffd
	v_add_co_ci_u32_e64 v4, null, s5, v24, vcc_lo
	s_delay_alu instid0(VALU_DEP_3)
	v_lshlrev_b32_e32 v47, 2, v37
	s_wait_alu 0xfffe
	v_add_co_u32 v77, vcc_lo, v23, s2
	global_load_b128 v[36:39], v[3:4], off
	s_wait_alu 0xfffd
	v_add_co_ci_u32_e64 v78, null, s3, v24, vcc_lo
	v_cvt_f32_f16_e32 v3, v35
	s_delay_alu instid0(VALU_DEP_1) | instskip(NEXT) | instid1(VALU_DEP_1)
	v_add_f32_e32 v34, v34, v3
	v_dual_add_f32 v33, v33, v3 :: v_dual_add_f32 v4, 0x40051340, v34
	s_delay_alu instid0(VALU_DEP_1) | instskip(NEXT) | instid1(VALU_DEP_1)
	v_dual_add_f32 v3, 0x40051340, v33 :: v_dual_max_num_f32 v4, v43, v4
	v_max_num_f32_e32 v3, v42, v3
	ds_bpermute_b32 v42, v44, v4
	s_wait_dscnt 0x0
	v_max_num_f32_e32 v42, v42, v42
	s_delay_alu instid0(VALU_DEP_1) | instskip(SKIP_4) | instid1(VALU_DEP_1)
	v_max_num_f32_e32 v4, v4, v42
	ds_bpermute_b32 v35, v44, v3
	ds_bpermute_b32 v42, v45, v4
	s_wait_dscnt 0x0
	v_dual_max_num_f32 v35, v35, v35 :: v_dual_max_num_f32 v42, v42, v42
	v_dual_max_num_f32 v3, v3, v35 :: v_dual_max_num_f32 v4, v4, v42
	ds_bpermute_b32 v35, v45, v3
	s_wait_dscnt 0x0
	v_max_num_f32_e32 v35, v35, v35
	s_delay_alu instid0(VALU_DEP_1)
	v_max_num_f32_e32 v3, v3, v35
	ds_bpermute_b32 v35, v31, v3
	ds_bpermute_b32 v31, v31, v4
	s_wait_dscnt 0x1
	v_max_num_f32_e32 v35, v35, v35
	s_wait_dscnt 0x0
	v_max_num_f32_e32 v31, v31, v31
	s_delay_alu instid0(VALU_DEP_2) | instskip(NEXT) | instid1(VALU_DEP_2)
	v_max_num_f32_e32 v3, v3, v35
	v_max_num_f32_e32 v4, v4, v31
	ds_bpermute_b32 v35, v46, v4
	s_wait_dscnt 0x0
	v_max_num_f32_e32 v35, v35, v35
	s_delay_alu instid0(VALU_DEP_1) | instskip(SKIP_3) | instid1(VALU_DEP_1)
	v_max_num_f32_e32 v4, v4, v35
	ds_bpermute_b32 v35, v47, v4
	s_wait_dscnt 0x0
	v_max_num_f32_e32 v35, v35, v35
	v_max_num_f32_e32 v4, v4, v35
	s_delay_alu instid0(VALU_DEP_1) | instskip(NEXT) | instid1(VALU_DEP_1)
	v_sub_f32_e32 v6, v6, v4
	v_mul_f32_e32 v42, 0x3fb8aa3b, v6
	v_cmp_ngt_f32_e64 s2, 0xc2ce8ed0, v6
	s_delay_alu instid0(VALU_DEP_2) | instskip(SKIP_1) | instid1(VALU_DEP_2)
	v_fma_f32 v48, 0x3fb8aa3b, v6, -v42
	v_rndne_f32_e32 v49, v42
	v_fmac_f32_e32 v48, 0x32a5705f, v6
	ds_bpermute_b32 v31, v46, v3
	v_sub_f32_e32 v42, v42, v49
	v_cvt_i32_f32_e32 v49, v49
	s_delay_alu instid0(VALU_DEP_2) | instskip(NEXT) | instid1(VALU_DEP_1)
	v_add_f32_e32 v42, v42, v48
	v_exp_f32_e32 v42, v42
	s_wait_dscnt 0x0
	v_max_num_f32_e32 v31, v31, v31
	s_delay_alu instid0(TRANS32_DEP_1) | instskip(NEXT) | instid1(VALU_DEP_2)
	v_ldexp_f32 v42, v42, v49
	v_max_num_f32_e32 v3, v3, v31
	s_wait_alu 0xf1ff
	s_delay_alu instid0(VALU_DEP_2) | instskip(SKIP_3) | instid1(VALU_DEP_1)
	v_cndmask_b32_e64 v42, 0, v42, s2
	ds_bpermute_b32 v31, v47, v3
	s_wait_dscnt 0x0
	v_max_num_f32_e32 v31, v31, v31
	v_max_num_f32_e32 v3, v3, v31
	s_delay_alu instid0(VALU_DEP_1) | instskip(SKIP_1) | instid1(VALU_DEP_2)
	v_sub_f32_e32 v31, v32, v3
	v_sub_f32_e32 v32, v33, v3
	v_cmp_ngt_f32_e64 s4, 0xc2ce8ed0, v31
	s_delay_alu instid0(VALU_DEP_2) | instskip(NEXT) | instid1(VALU_DEP_1)
	v_mul_f32_e32 v35, 0x3fb8aa3b, v32
	v_fma_f32 v46, 0x3fb8aa3b, v32, -v35
	v_rndne_f32_e32 v47, v35
	s_delay_alu instid0(VALU_DEP_1) | instskip(SKIP_1) | instid1(VALU_DEP_2)
	v_dual_fmac_f32 v46, 0x32a5705f, v32 :: v_dual_sub_f32 v35, v35, v47
	v_cvt_i32_f32_e32 v47, v47
	v_add_f32_e32 v35, v35, v46
	v_sub_f32_e32 v33, v34, v4
	v_cmp_ngt_f32_e32 vcc_lo, 0xc2ce8ed0, v32
	s_delay_alu instid0(VALU_DEP_3) | instskip(NEXT) | instid1(VALU_DEP_2)
	v_exp_f32_e32 v35, v35
	v_mul_f32_e32 v43, 0x3fb8aa3b, v33
	v_cmp_ngt_f32_e64 s3, 0xc2ce8ed0, v33
	v_cmp_nlt_f32_e64 s2, 0x42b17218, v33
	s_delay_alu instid0(VALU_DEP_3) | instskip(SKIP_1) | instid1(TRANS32_DEP_1)
	v_fma_f32 v50, 0x3fb8aa3b, v33, -v43
	v_rndne_f32_e32 v51, v43
	v_ldexp_f32 v35, v35, v47
	s_delay_alu instid0(VALU_DEP_2) | instskip(SKIP_2) | instid1(VALU_DEP_3)
	v_dual_fmac_f32 v50, 0x32a5705f, v33 :: v_dual_sub_f32 v43, v43, v51
	v_mul_f32_e32 v34, 0x3fb8aa3b, v31
	v_cvt_i32_f32_e32 v51, v51
	v_add_f32_e32 v43, v43, v50
	s_delay_alu instid0(VALU_DEP_3) | instskip(SKIP_1) | instid1(VALU_DEP_3)
	v_fma_f32 v44, 0x3fb8aa3b, v31, -v34
	v_rndne_f32_e32 v45, v34
	v_exp_f32_e32 v43, v43
	s_delay_alu instid0(VALU_DEP_2) | instskip(NEXT) | instid1(VALU_DEP_2)
	v_fmac_f32_e32 v44, 0x32a5705f, v31
	v_sub_f32_e32 v34, v34, v45
	v_cvt_i32_f32_e32 v45, v45
	s_delay_alu instid0(VALU_DEP_2) | instskip(NEXT) | instid1(TRANS32_DEP_1)
	v_add_f32_e32 v34, v34, v44
	v_ldexp_f32 v43, v43, v51
	s_delay_alu instid0(VALU_DEP_2) | instskip(NEXT) | instid1(TRANS32_DEP_1)
	v_exp_f32_e32 v34, v34
	v_ldexp_f32 v34, v34, v45
	s_wait_alu 0xf1ff
	s_delay_alu instid0(VALU_DEP_1)
	v_cndmask_b32_e64 v34, 0, v34, s4
	v_cmp_nlt_f32_e64 s4, 0x42b17218, v31
	s_wait_alu 0xfffd
	v_cndmask_b32_e32 v31, 0, v35, vcc_lo
	v_cndmask_b32_e64 v35, 0, v43, s3
	v_cmp_nlt_f32_e64 s3, 0x42b17218, v32
	v_cmp_nlt_f32_e32 vcc_lo, 0x42b17218, v6
	s_wait_alu 0xf1ff
	v_cndmask_b32_e64 v6, 0x7f800000, v34, s4
	s_delay_alu instid0(VALU_DEP_3) | instskip(SKIP_3) | instid1(VALU_DEP_3)
	v_cndmask_b32_e64 v32, 0x7f800000, v31, s3
	v_cndmask_b32_e64 v31, 0x7f800000, v35, s2
	s_wait_alu 0xfffd
	v_cndmask_b32_e32 v33, 0x7f800000, v42, vcc_lo
	v_cvt_f16_f32_e32 v34, v32
	s_delay_alu instid0(VALU_DEP_3)
	v_cvt_f16_f32_e32 v35, v31
	v_fmac_f32_e32 v32, v5, v6
	v_cvt_f16_f32_e32 v5, v6
	v_cvt_f16_f32_e32 v6, v33
	v_fmac_f32_e32 v31, v40, v33
	v_pack_b32_f16 v34, v34, v35
	ds_store_b32 v41, v34
	s_wait_loadcnt 0x0
	ds_store_b128 v22, v[36:39]
	s_wait_dscnt 0x0
	s_barrier_signal -1
	s_barrier_wait -1
	global_inv scope:SCOPE_SE
	ds_load_b128 v[33:36], v21
	ds_load_b128 v[37:40], v21 offset:16
	ds_load_2addr_b64 v[41:44], v25 offset1:32
	ds_load_b128 v[45:48], v21 offset:32
	ds_load_b128 v[49:52], v21 offset:48
	ds_load_2addr_b64 v[53:56], v25 offset0:64 offset1:96
	ds_load_2addr_b64 v[57:60], v25 offset0:128 offset1:160
	;; [unrolled: 1-line block ×3, first 2 shown]
	ds_load_2addr_b64 v[65:68], v26 offset1:32
	ds_load_2addr_b64 v[69:72], v26 offset0:64 offset1:96
	ds_load_2addr_b64 v[73:76], v26 offset0:128 offset1:160
	v_and_b32_e32 v6, 0xffff, v6
	v_and_b32_e32 v5, 0xffff, v5
	s_delay_alu instid0(VALU_DEP_2) | instskip(NEXT) | instid1(VALU_DEP_2)
	v_mul_u32_u24_e32 v6, 0x10001, v6
	v_mul_u32_u24_e32 v5, 0x10001, v5
	s_delay_alu instid0(VALU_DEP_2)
	v_pk_mul_f16 v96, v27, v6
	s_wait_dscnt 0x7
	v_lshrrev_b32_e32 v90, 16, v45
	v_and_b32_e32 v45, 0xffff, v45
	v_lshrrev_b32_e32 v91, 16, v46
	v_and_b32_e32 v46, 0xffff, v46
	v_lshrrev_b32_e32 v92, 16, v47
	v_lshrrev_b32_e32 v79, 16, v33
	v_and_b32_e32 v33, 0xffff, v33
	v_lshrrev_b32_e32 v80, 16, v34
	v_and_b32_e32 v81, 0xffff, v34
	v_lshrrev_b32_e32 v82, 16, v35
	v_mul_u32_u24_e32 v79, 0x10001, v79
	v_mul_u32_u24_e32 v94, 0x10001, v33
	v_and_b32_e32 v83, 0xffff, v35
	v_lshrrev_b32_e32 v84, 16, v36
	v_and_b32_e32 v85, 0xffff, v36
	v_pk_mul_f16 v27, v41, v79
	v_pk_mul_f16 v33, v41, v94
	v_lshrrev_b32_e32 v86, 16, v37
	v_and_b32_e32 v37, 0xffff, v37
	v_lshrrev_b32_e32 v87, 16, v38
	v_pk_fma_f16 v6, v28, v6, v27
	v_pk_fma_f16 v95, v30, v5, v33
	ds_load_2addr_b64 v[33:36], v26 offset0:192 offset1:224
	s_wait_loadcnt_dscnt 0x0
	s_barrier_signal -1
	s_barrier_wait -1
	global_inv scope:SCOPE_SE
	v_pk_mul_f16 v5, v29, v5
	global_load_b128 v[27:30], v[77:78], off
	v_mul_u32_u24_e32 v77, 0x10001, v81
	v_mul_u32_u24_e32 v81, 0x10001, v85
	v_and_b32_e32 v38, 0xffff, v38
	v_pk_fma_f16 v5, v42, v94, v5
	v_pk_fma_f16 v42, v42, v79, v96
	v_mul_u32_u24_e32 v79, 0x10001, v80
	v_mul_u32_u24_e32 v80, 0x10001, v82
	;; [unrolled: 1-line block ×3, first 2 shown]
	v_pk_fma_f16 v5, v44, v77, v5
	v_pk_fma_f16 v77, v43, v77, v95
	;; [unrolled: 1-line block ×4, first 2 shown]
	v_mul_u32_u24_e32 v79, 0x10001, v83
	v_mul_u32_u24_e32 v37, 0x10001, v37
	;; [unrolled: 1-line block ×3, first 2 shown]
	v_pk_fma_f16 v42, v54, v80, v42
	v_pk_fma_f16 v6, v53, v80, v6
	;; [unrolled: 1-line block ×4, first 2 shown]
	v_lshrrev_b32_e32 v88, 16, v39
	v_pk_fma_f16 v42, v56, v82, v42
	v_pk_fma_f16 v6, v55, v82, v6
	;; [unrolled: 1-line block ×4, first 2 shown]
	v_and_b32_e32 v39, 0xffff, v39
	v_mul_u32_u24_e32 v38, 0x10001, v38
	v_mul_u32_u24_e32 v84, 0x10001, v87
	v_pk_fma_f16 v5, v58, v37, v5
	v_pk_fma_f16 v42, v58, v83, v42
	v_pk_fma_f16 v37, v57, v37, v53
	v_pk_fma_f16 v6, v57, v83, v6
	v_lshrrev_b32_e32 v89, 16, v40
	v_and_b32_e32 v40, 0xffff, v40
	v_mul_u32_u24_e32 v39, 0x10001, v39
	v_mul_u32_u24_e32 v85, 0x10001, v88
	v_pk_fma_f16 v5, v60, v38, v5
	v_pk_fma_f16 v42, v60, v84, v42
	v_pk_fma_f16 v37, v59, v38, v37
	v_pk_fma_f16 v6, v59, v84, v6
	v_mul_u32_u24_e32 v40, 0x10001, v40
	v_mul_u32_u24_e32 v86, 0x10001, v89
	v_pk_fma_f16 v5, v62, v39, v5
	v_pk_fma_f16 v38, v62, v85, v42
	v_pk_fma_f16 v37, v61, v39, v37
	v_pk_fma_f16 v6, v61, v85, v6
	;; [unrolled: 6-line block ×3, first 2 shown]
	v_and_b32_e32 v47, 0xffff, v47
	v_mul_u32_u24_e32 v46, 0x10001, v46
	v_mul_u32_u24_e32 v88, 0x10001, v91
	v_pk_fma_f16 v5, v66, v45, v5
	v_pk_fma_f16 v38, v66, v87, v38
	v_pk_fma_f16 v37, v65, v45, v37
	v_pk_fma_f16 v6, v65, v87, v6
	v_lshrrev_b32_e32 v93, 16, v48
	v_and_b32_e32 v48, 0xffff, v48
	v_mul_u32_u24_e32 v47, 0x10001, v47
	v_mul_u32_u24_e32 v89, 0x10001, v92
	v_pk_fma_f16 v5, v68, v46, v5
	v_pk_fma_f16 v38, v68, v88, v38
	v_pk_fma_f16 v37, v67, v46, v37
	v_pk_fma_f16 v6, v67, v88, v6
	v_lshrrev_b32_e32 v41, 16, v49
	;; [unrolled: 8-line block ×5, first 2 shown]
	v_and_b32_e32 v52, 0xffff, v52
	v_mul_u32_u24_e32 v50, 0x10001, v50
	v_mul_u32_u24_e32 v44, 0x10001, v44
	v_pk_fma_f16 v5, v76, v43, v5
	v_pk_fma_f16 v38, v76, v78, v38
	;; [unrolled: 1-line block ×4, first 2 shown]
	v_mul_u32_u24_e32 v52, 0x10001, v52
	v_mul_u32_u24_e32 v51, 0x10001, v51
	v_pk_fma_f16 v5, v34, v50, v5
	v_pk_fma_f16 v34, v34, v44, v38
	;; [unrolled: 1-line block ×4, first 2 shown]
	s_delay_alu instid0(VALU_DEP_4) | instskip(NEXT) | instid1(VALU_DEP_4)
	v_pk_fma_f16 v5, v36, v52, v5
	v_pk_fma_f16 v73, v36, v51, v34
	s_delay_alu instid0(VALU_DEP_4) | instskip(NEXT) | instid1(VALU_DEP_4)
	v_pk_fma_f16 v74, v35, v52, v37
	v_pk_fma_f16 v6, v35, v51, v6
	s_wait_loadcnt 0x0
	ds_store_b128 v22, v[27:30]
	s_wait_dscnt 0x0
	s_barrier_signal -1
	s_barrier_wait -1
	global_inv scope:SCOPE_SE
	ds_load_b128 v[27:30], v21 offset:64
	ds_load_b128 v[33:36], v21 offset:80
	ds_load_2addr_b64 v[37:40], v25 offset1:32
	ds_load_b128 v[41:44], v21 offset:96
	ds_load_b128 v[45:48], v21 offset:112
	ds_load_2addr_b64 v[49:52], v25 offset0:64 offset1:96
	ds_load_2addr_b64 v[53:56], v25 offset0:128 offset1:160
	;; [unrolled: 1-line block ×3, first 2 shown]
	ds_load_2addr_b64 v[61:64], v26 offset1:32
	ds_load_2addr_b64 v[65:68], v26 offset0:64 offset1:96
	ds_load_2addr_b64 v[69:72], v26 offset0:128 offset1:160
	s_wait_dscnt 0xa
	v_lshrrev_b32_e32 v75, 16, v27
	v_and_b32_e32 v27, 0xffff, v27
	v_lshrrev_b32_e32 v76, 16, v28
	v_and_b32_e32 v28, 0xffff, v28
	v_lshrrev_b32_e32 v77, 16, v29
	v_mul_u32_u24_e32 v75, 0x10001, v75
	v_mul_u32_u24_e32 v27, 0x10001, v27
	v_and_b32_e32 v29, 0xffff, v29
	v_mul_u32_u24_e32 v28, 0x10001, v28
	v_mul_u32_u24_e32 v76, 0x10001, v76
	s_wait_dscnt 0x8
	v_pk_fma_f16 v6, v37, v75, v6
	v_pk_fma_f16 v74, v37, v27, v74
	v_pk_fma_f16 v5, v38, v27, v5
	v_pk_fma_f16 v27, v38, v75, v73
	v_lshrrev_b32_e32 v78, 16, v30
	v_and_b32_e32 v30, 0xffff, v30
	v_mul_u32_u24_e32 v29, 0x10001, v29
	v_mul_u32_u24_e32 v77, 0x10001, v77
	v_pk_fma_f16 v38, v39, v28, v74
	v_pk_fma_f16 v6, v39, v76, v6
	v_pk_fma_f16 v5, v40, v28, v5
	v_pk_fma_f16 v27, v40, v76, v27
	v_lshrrev_b32_e32 v79, 16, v33
	v_and_b32_e32 v80, 0xffff, v33
	v_mul_u32_u24_e32 v30, 0x10001, v30
	v_mul_u32_u24_e32 v78, 0x10001, v78
	s_wait_dscnt 0x5
	v_pk_fma_f16 v38, v49, v29, v38
	v_pk_fma_f16 v6, v49, v77, v6
	v_pk_fma_f16 v5, v50, v29, v5
	v_pk_fma_f16 v27, v50, v77, v27
	v_lshrrev_b32_e32 v81, 16, v34
	v_and_b32_e32 v82, 0xffff, v34
	v_mul_u32_u24_e32 v80, 0x10001, v80
	v_mul_u32_u24_e32 v79, 0x10001, v79
	v_pk_fma_f16 v38, v51, v30, v38
	v_pk_fma_f16 v6, v51, v78, v6
	v_pk_fma_f16 v5, v52, v30, v5
	v_pk_fma_f16 v27, v52, v78, v27
	v_lshrrev_b32_e32 v83, 16, v35
	;; [unrolled: 17-line block ×5, first 2 shown]
	v_and_b32_e32 v45, 0xffff, v45
	ds_load_2addr_b64 v[33:36], v26 offset0:192 offset1:224
	v_mul_u32_u24_e32 v39, 0x10001, v44
	v_mul_u32_u24_e32 v40, 0x10001, v90
	s_wait_dscnt 0x2
	v_pk_fma_f16 v37, v65, v29, v38
	v_pk_fma_f16 v6, v65, v30, v6
	;; [unrolled: 1-line block ×4, first 2 shown]
	s_wait_loadcnt_dscnt 0x0
	s_barrier_signal -1
	s_barrier_wait -1
	global_inv scope:SCOPE_SE
	s_load_b32 s2, s[6:7], 0x4
	v_lshrrev_b32_e32 v92, 16, v46
	v_and_b32_e32 v46, 0xffff, v46
	v_mul_u32_u24_e32 v42, 0x10001, v45
	v_mul_u32_u24_e32 v43, 0x10001, v91
	v_pk_fma_f16 v30, v67, v39, v37
	v_pk_fma_f16 v6, v67, v40, v6
	v_pk_fma_f16 v5, v68, v39, v5
	v_pk_fma_f16 v27, v68, v40, v27
	v_lshrrev_b32_e32 v93, 16, v47
	v_and_b32_e32 v47, 0xffff, v47
	v_mul_u32_u24_e32 v41, 0x10001, v46
	v_mul_u32_u24_e32 v28, 0x10001, v92
	v_pk_fma_f16 v30, v69, v42, v30
	v_pk_fma_f16 v6, v69, v43, v6
	v_pk_fma_f16 v5, v70, v42, v5
	v_pk_fma_f16 v27, v70, v43, v27
	;; [unrolled: 8-line block ×3, first 2 shown]
	v_mul_u32_u24_e32 v38, 0x10001, v48
	v_mul_u32_u24_e32 v39, 0x10001, v94
	v_pk_fma_f16 v28, v33, v29, v30
	v_pk_fma_f16 v6, v33, v37, v6
	;; [unrolled: 1-line block ×4, first 2 shown]
	s_wait_kmcnt 0x0
	s_lshl_b32 s2, s2, 5
	v_pk_fma_f16 v30, v35, v38, v28
	v_pk_fma_f16 v28, v35, v39, v6
	;; [unrolled: 1-line block ×4, first 2 shown]
	s_wait_alu 0xfffe
	s_add_co_i32 s14, s2, s14
	s_wait_alu 0xfffe
	s_cmp_ge_i32 s14, s30
	s_cbranch_scc0 .LBB13_13
; %bb.14:
	v_mov_b32_e32 v2, v8
.LBB13_15:
	v_cmp_lt_i32_e32 vcc_lo, v16, v11
	s_cmp_lg_u64 s[12:13], 0
	s_cselect_b32 s2, -1, 0
	s_cmp_eq_u32 s10, 0
	s_wait_alu 0xfffd
	v_cndmask_b32_e32 v5, v2, v16, vcc_lo
	v_cmp_lt_i32_e32 vcc_lo, v15, v11
	s_cselect_b32 s3, -1, 0
	s_wait_alu 0xfffe
	s_and_b32 s2, s3, s2
	s_wait_alu 0xfffd
	v_cndmask_b32_e32 v7, v2, v15, vcc_lo
	v_cmp_lt_i32_e32 vcc_lo, v14, v11
	s_wait_alu 0xfffd
	v_dual_cndmask_b32 v14, v2, v14 :: v_dual_lshlrev_b32 v5, 2, v5
	ds_bpermute_b32 v6, v5, v32
	ds_bpermute_b32 v5, v5, v31
	v_cmp_lt_i32_e32 vcc_lo, v13, v11
	s_wait_alu 0xfffd
	v_dual_cndmask_b32 v13, v2, v13 :: v_dual_lshlrev_b32 v14, 2, v14
	v_cmp_lt_i32_e32 vcc_lo, v12, v11
	s_wait_alu 0xfffd
	v_cndmask_b32_e32 v2, v2, v12, vcc_lo
	s_wait_alu 0xfffe
	s_and_b32 vcc_lo, exec_lo, s2
	s_delay_alu instid0(VALU_DEP_1)
	v_lshlrev_b32_e32 v2, 2, v2
	s_wait_dscnt 0x1
	v_dual_add_f32 v6, v32, v6 :: v_dual_lshlrev_b32 v7, 2, v7
	ds_bpermute_b32 v8, v7, v6
	s_wait_dscnt 0x0
	v_dual_add_f32 v6, v6, v8 :: v_dual_add_f32 v5, v31, v5
	ds_bpermute_b32 v7, v7, v5
	s_wait_dscnt 0x0
	v_add_f32_e32 v5, v5, v7
	ds_bpermute_b32 v7, v14, v6
	ds_bpermute_b32 v8, v14, v5
	s_wait_dscnt 0x1
	v_dual_add_f32 v6, v6, v7 :: v_dual_lshlrev_b32 v13, 2, v13
	s_wait_dscnt 0x0
	v_add_f32_e32 v5, v5, v8
	ds_bpermute_b32 v7, v13, v6
	s_wait_dscnt 0x0
	v_add_f32_e32 v6, v6, v7
	ds_bpermute_b32 v8, v13, v5
	;; [unrolled: 3-line block ×3, first 2 shown]
	ds_bpermute_b32 v2, v2, v7
	s_wait_dscnt 0x0
	v_dual_add_f32 v5, v6, v5 :: v_dual_add_f32 v6, v7, v2
	s_wait_alu 0xfffe
	s_cbranch_vccz .LBB13_18
; %bb.16:
	v_dual_max_num_f32 v2, v3, v3 :: v_dual_add_nc_u32 v7, s33, v9
	v_max_num_f32_e32 v12, v4, v4
	s_delay_alu instid0(VALU_DEP_2) | instskip(NEXT) | instid1(VALU_DEP_1)
	v_ashrrev_i32_e32 v8, 31, v7
	v_lshlrev_b64_e32 v[7:8], 2, v[7:8]
	s_delay_alu instid0(VALU_DEP_1) | instskip(SKIP_1) | instid1(VALU_DEP_2)
	v_add_co_u32 v7, vcc_lo, s12, v7
	s_wait_alu 0xfffd
	v_add_co_ci_u32_e64 v8, null, s13, v8, vcc_lo
	global_load_b64 v[7:8], v[7:8], off
	s_wait_loadcnt 0x0
	v_max_num_f32_e32 v11, v7, v7
	s_delay_alu instid0(VALU_DEP_1) | instskip(NEXT) | instid1(VALU_DEP_1)
	v_max_num_f32_e32 v11, v2, v11
	v_dual_max_num_f32 v13, v8, v8 :: v_dual_sub_f32 v2, v3, v11
	s_delay_alu instid0(VALU_DEP_1) | instskip(NEXT) | instid1(VALU_DEP_1)
	v_dual_max_num_f32 v12, v12, v13 :: v_dual_sub_f32 v3, v7, v11
	v_dual_mul_f32 v7, 0x3fb8aa3b, v2 :: v_dual_sub_f32 v8, v8, v12
	s_delay_alu instid0(VALU_DEP_2) | instskip(SKIP_1) | instid1(VALU_DEP_3)
	v_dual_sub_f32 v4, v4, v12 :: v_dual_mul_f32 v13, 0x3fb8aa3b, v3
	v_cmp_ngt_f32_e32 vcc_lo, 0xc2ce8ed0, v2
	v_fma_f32 v16, 0x3fb8aa3b, v2, -v7
	v_rndne_f32_e32 v17, v7
	s_delay_alu instid0(VALU_DEP_4) | instskip(SKIP_2) | instid1(VALU_DEP_4)
	v_mul_f32_e32 v14, 0x3fb8aa3b, v4
	v_fma_f32 v18, 0x3fb8aa3b, v3, -v13
	v_rndne_f32_e32 v21, v13
	v_dual_fmac_f32 v16, 0x32a5705f, v2 :: v_dual_sub_f32 v7, v7, v17
	s_delay_alu instid0(VALU_DEP_4) | instskip(SKIP_1) | instid1(VALU_DEP_4)
	v_fma_f32 v19, 0x3fb8aa3b, v4, -v14
	v_rndne_f32_e32 v20, v14
	v_dual_fmac_f32 v18, 0x32a5705f, v3 :: v_dual_sub_f32 v13, v13, v21
	s_delay_alu instid0(VALU_DEP_4) | instskip(NEXT) | instid1(VALU_DEP_4)
	v_add_f32_e32 v7, v7, v16
	v_fmac_f32_e32 v19, 0x32a5705f, v4
	s_delay_alu instid0(VALU_DEP_4)
	v_sub_f32_e32 v14, v14, v20
	v_mul_f32_e32 v15, 0x3fb8aa3b, v8
	v_cvt_i32_f32_e32 v16, v17
	v_exp_f32_e32 v7, v7
	v_cvt_i32_f32_e32 v17, v20
	v_add_f32_e32 v14, v14, v19
	v_fma_f32 v22, 0x3fb8aa3b, v8, -v15
	v_rndne_f32_e32 v23, v15
	s_delay_alu instid0(VALU_DEP_3) | instskip(NEXT) | instid1(VALU_DEP_1)
	v_exp_f32_e32 v14, v14
	v_dual_fmac_f32 v22, 0x32a5705f, v8 :: v_dual_sub_f32 v15, v15, v23
	s_delay_alu instid0(TRANS32_DEP_2) | instskip(SKIP_2) | instid1(VALU_DEP_2)
	v_ldexp_f32 v7, v7, v16
	v_cvt_i32_f32_e32 v16, v23
	s_wait_alu 0xfffd
	v_cndmask_b32_e32 v7, 0, v7, vcc_lo
	v_cmp_ngt_f32_e32 vcc_lo, 0xc2ce8ed0, v4
	s_delay_alu instid0(TRANS32_DEP_1) | instskip(SKIP_1) | instid1(VALU_DEP_1)
	v_ldexp_f32 v14, v14, v17
	s_wait_alu 0xfffd
	v_cndmask_b32_e32 v14, 0, v14, vcc_lo
	v_cmp_nlt_f32_e32 vcc_lo, 0x42b17218, v2
	v_add_f32_e32 v13, v13, v18
	v_cvt_i32_f32_e32 v18, v21
	s_wait_alu 0xfffd
	v_cndmask_b32_e32 v2, 0x7f800000, v7, vcc_lo
	s_delay_alu instid0(VALU_DEP_3) | instskip(SKIP_4) | instid1(TRANS32_DEP_1)
	v_exp_f32_e32 v13, v13
	v_cmp_nlt_f32_e32 vcc_lo, 0x42b17218, v4
	s_wait_alu 0xfffd
	v_cndmask_b32_e32 v14, 0x7f800000, v14, vcc_lo
	v_cmp_ngt_f32_e32 vcc_lo, 0xc2ce8ed0, v3
	v_ldexp_f32 v13, v13, v18
	s_wait_alu 0xfffd
	s_delay_alu instid0(VALU_DEP_1) | instskip(SKIP_3) | instid1(VALU_DEP_2)
	v_cndmask_b32_e32 v7, 0, v13, vcc_lo
	v_cmp_ngt_f32_e32 vcc_lo, 0xc2ce8ed0, v8
	v_add_f32_e32 v15, v15, v22
	v_cvt_f16_f32_e32 v13, v2
	v_exp_f32_e32 v15, v15
	s_delay_alu instid0(TRANS32_DEP_1) | instskip(SKIP_1) | instid1(VALU_DEP_1)
	v_ldexp_f32 v4, v15, v16
	s_wait_alu 0xfffd
	v_cndmask_b32_e32 v4, 0, v4, vcc_lo
	v_cmp_nlt_f32_e32 vcc_lo, 0x42b17218, v3
	v_and_b32_e32 v3, 0xffff, v13
	s_wait_alu 0xfffd
	v_cndmask_b32_e32 v7, 0x7f800000, v7, vcc_lo
	v_cmp_nlt_f32_e32 vcc_lo, 0x42b17218, v8
	s_wait_alu 0xfffd
	s_delay_alu instid0(VALU_DEP_2)
	v_dual_fmac_f32 v7, v5, v2 :: v_dual_cndmask_b32 v8, 0x7f800000, v4
	v_mul_u32_u24_e32 v2, 0x10001, v3
	v_mov_b32_e32 v3, v11
	v_cvt_f16_f32_e32 v15, v14
	v_mov_b32_e32 v4, v12
	v_dual_fmac_f32 v8, v6, v14 :: v_dual_mov_b32 v5, v7
	v_pk_mul_f16 v30, v30, v2
	s_delay_alu instid0(VALU_DEP_4) | instskip(SKIP_1) | instid1(VALU_DEP_4)
	v_and_b32_e32 v13, 0xffff, v15
	v_pk_mul_f16 v29, v29, v2
	v_mov_b32_e32 v6, v8
	s_delay_alu instid0(VALU_DEP_3) | instskip(NEXT) | instid1(VALU_DEP_1)
	v_mul_u32_u24_e32 v11, 0x10001, v13
	v_pk_mul_f16 v28, v28, v11
	v_pk_mul_f16 v27, v27, v11
	s_mov_b32 s2, exec_lo
	v_cmpx_gt_i32_e64 s22, v1
	s_cbranch_execnz .LBB13_19
.LBB13_17:
	s_nop 0
	s_sendmsg sendmsg(MSG_DEALLOC_VGPRS)
	s_endpgm
.LBB13_18:
	s_delay_alu instid0(VALU_DEP_1)
	v_dual_mov_b32 v8, v6 :: v_dual_mov_b32 v7, v5
	s_mov_b32 s2, exec_lo
	v_cmpx_gt_i32_e64 s22, v1
	s_cbranch_execz .LBB13_17
.LBB13_19:
	s_load_b32 s1, s[0:1], 0xd4
	v_mov_b32_e32 v11, 1.0
	s_wait_kmcnt 0x0
	s_cmp_lg_u32 s1, 1
	s_cselect_b32 s3, -1, 0
	s_cmp_eq_u32 s1, 1
	s_cselect_b32 s2, -1, 0
	s_wait_alu 0xfffe
	s_and_b32 vcc_lo, exec_lo, s3
	s_wait_alu 0xfffe
	s_cbranch_vccnz .LBB13_21
; %bb.20:
	v_div_scale_f32 v2, null, v5, v5, 1.0
	s_delay_alu instid0(VALU_DEP_1) | instskip(NEXT) | instid1(TRANS32_DEP_1)
	v_rcp_f32_e32 v11, v2
	v_fma_f32 v12, -v2, v11, 1.0
	s_delay_alu instid0(VALU_DEP_1) | instskip(SKIP_1) | instid1(VALU_DEP_1)
	v_fmac_f32_e32 v11, v12, v11
	v_div_scale_f32 v12, vcc_lo, 1.0, v5, 1.0
	v_mul_f32_e32 v13, v12, v11
	s_delay_alu instid0(VALU_DEP_1) | instskip(NEXT) | instid1(VALU_DEP_1)
	v_fma_f32 v14, -v2, v13, v12
	v_fmac_f32_e32 v13, v14, v11
	s_delay_alu instid0(VALU_DEP_1) | instskip(SKIP_1) | instid1(VALU_DEP_1)
	v_fma_f32 v2, -v2, v13, v12
	s_wait_alu 0xfffd
	v_div_fmas_f32 v2, v2, v11, v13
	s_delay_alu instid0(VALU_DEP_1)
	v_div_fixup_f32 v11, v2, v5, 1.0
.LBB13_21:
	v_mad_co_u64_u32 v[1:2], null, s28, s22, v[1:2]
	v_cvt_f32_f16_e32 v5, v30
	v_mov_b32_e32 v13, 0
	v_cmp_eq_u32_e32 vcc_lo, 0, v0
	v_lshrrev_b32_e32 v0, 16, v30
	v_mul_lo_u32 v1, v1, s23
	s_delay_alu instid0(VALU_DEP_2) | instskip(NEXT) | instid1(VALU_DEP_2)
	v_cvt_f32_f16_e32 v0, v0
	v_add3_u32 v1, s33, v9, v1
	v_cvt_f32_f16_e32 v9, v29
	s_delay_alu instid0(VALU_DEP_2) | instskip(SKIP_1) | instid1(VALU_DEP_3)
	v_mad_co_u64_u32 v[1:2], null, s1, v1, s[10:11]
	v_lshrrev_b32_e32 v2, 16, v29
	v_mul_f32_e32 v14, v11, v9
	s_delay_alu instid0(VALU_DEP_2) | instskip(NEXT) | instid1(VALU_DEP_4)
	v_cvt_f32_f16_e32 v2, v2
	v_lshl_add_u32 v12, v1, 7, v10
	s_delay_alu instid0(VALU_DEP_2) | instskip(NEXT) | instid1(VALU_DEP_2)
	v_mul_f32_e32 v15, v11, v2
	v_lshlrev_b64_e32 v[16:17], 2, v[12:13]
	v_mul_f32_e32 v12, v11, v5
	v_mul_f32_e32 v13, v11, v0
	s_delay_alu instid0(VALU_DEP_3) | instskip(SKIP_1) | instid1(VALU_DEP_4)
	v_add_co_u32 v16, s0, s16, v16
	s_wait_alu 0xf1ff
	v_add_co_ci_u32_e64 v17, null, s17, v17, s0
	s_and_b32 s0, vcc_lo, s3
	global_store_b128 v[16:17], v[12:15], off
	s_wait_alu 0xfffe
	s_and_saveexec_b32 s3, s0
	s_cbranch_execz .LBB13_23
; %bb.22:
	v_ashrrev_i32_e32 v2, 31, v1
	s_delay_alu instid0(VALU_DEP_1) | instskip(SKIP_1) | instid1(VALU_DEP_2)
	v_lshlrev_b64_e32 v[11:12], 3, v[1:2]
	v_dual_mov_b32 v2, v3 :: v_dual_mov_b32 v3, v7
	v_add_co_u32 v11, vcc_lo, s18, v11
	s_wait_alu 0xfffd
	s_delay_alu instid0(VALU_DEP_3)
	v_add_co_ci_u32_e64 v12, null, s19, v12, vcc_lo
	global_store_b64 v[11:12], v[2:3], off
.LBB13_23:
	s_wait_alu 0xfffe
	s_or_b32 exec_lo, exec_lo, s3
	v_mov_b32_e32 v2, 1.0
	s_and_not1_b32 vcc_lo, exec_lo, s2
	s_wait_alu 0xfffe
	s_cbranch_vccnz .LBB13_25
; %bb.24:
	v_div_scale_f32 v0, null, v6, v6, 1.0
	s_delay_alu instid0(VALU_DEP_1) | instskip(NEXT) | instid1(TRANS32_DEP_1)
	v_rcp_f32_e32 v2, v0
	v_fma_f32 v3, -v0, v2, 1.0
	s_delay_alu instid0(VALU_DEP_1) | instskip(SKIP_1) | instid1(VALU_DEP_1)
	v_fmac_f32_e32 v2, v3, v2
	v_div_scale_f32 v3, vcc_lo, 1.0, v6, 1.0
	v_mul_f32_e32 v5, v3, v2
	s_delay_alu instid0(VALU_DEP_1) | instskip(NEXT) | instid1(VALU_DEP_1)
	v_fma_f32 v7, -v0, v5, v3
	v_fmac_f32_e32 v5, v7, v2
	s_delay_alu instid0(VALU_DEP_1) | instskip(SKIP_1) | instid1(VALU_DEP_1)
	v_fma_f32 v0, -v0, v5, v3
	s_wait_alu 0xfffd
	v_div_fmas_f32 v0, v0, v2, v5
	s_delay_alu instid0(VALU_DEP_1)
	v_div_fixup_f32 v2, v0, v6, 1.0
.LBB13_25:
	v_cvt_f32_f16_e32 v7, v28
	v_add_nc_u32_e32 v0, s1, v1
	v_lshrrev_b32_e32 v1, 16, v28
	v_lshrrev_b32_e32 v3, 16, v27
	s_delay_alu instid0(VALU_DEP_4) | instskip(NEXT) | instid1(VALU_DEP_4)
	v_mul_f32_e32 v9, v2, v7
	v_lshl_add_u32 v5, v0, 7, v10
	v_cvt_f32_f16_e32 v10, v27
	v_mov_b32_e32 v6, 0
	v_cvt_f32_f16_e32 v1, v1
	v_cvt_f32_f16_e32 v3, v3
	s_delay_alu instid0(VALU_DEP_4) | instskip(NEXT) | instid1(VALU_DEP_4)
	v_mul_f32_e32 v11, v2, v10
	v_lshlrev_b64_e32 v[5:6], 2, v[5:6]
	s_delay_alu instid0(VALU_DEP_4) | instskip(NEXT) | instid1(VALU_DEP_4)
	v_mul_f32_e32 v10, v2, v1
	v_mul_f32_e32 v12, v2, v3
	s_delay_alu instid0(VALU_DEP_3) | instskip(SKIP_1) | instid1(VALU_DEP_4)
	v_add_co_u32 v1, vcc_lo, s16, v5
	s_wait_alu 0xfffd
	v_add_co_ci_u32_e64 v2, null, s17, v6, vcc_lo
	global_store_b128 v[1:2], v[9:12], off
	s_and_b32 exec_lo, exec_lo, s0
	s_cbranch_execz .LBB13_17
; %bb.26:
	v_ashrrev_i32_e32 v1, 31, v0
	v_mov_b32_e32 v7, v4
	s_delay_alu instid0(VALU_DEP_2) | instskip(NEXT) | instid1(VALU_DEP_1)
	v_lshlrev_b64_e32 v[0:1], 3, v[0:1]
	v_add_co_u32 v0, vcc_lo, s18, v0
	s_wait_alu 0xfffd
	s_delay_alu instid0(VALU_DEP_2)
	v_add_co_ci_u32_e64 v1, null, s19, v1, vcc_lo
	global_store_b64 v[0:1], v[7:8], off
	s_nop 0
	s_sendmsg sendmsg(MSG_DEALLOC_VGPRS)
	s_endpgm
	.section	.rodata,"a",@progbits
	.p2align	6, 0x0
	.amdhsa_kernel _ZL15flash_attn_tileILi192ELi128ELi2ELi8ELb0EEvPKcS1_S1_S1_S1_PKiPfP15HIP_vector_typeIfLj2EEffffjfiS5_IjLj3EEiiiiiiiiiiiliiliiiiil
		.amdhsa_group_segment_fixed_size 11776
		.amdhsa_private_segment_fixed_size 0
		.amdhsa_kernarg_size 464
		.amdhsa_user_sgpr_count 2
		.amdhsa_user_sgpr_dispatch_ptr 0
		.amdhsa_user_sgpr_queue_ptr 0
		.amdhsa_user_sgpr_kernarg_segment_ptr 1
		.amdhsa_user_sgpr_dispatch_id 0
		.amdhsa_user_sgpr_private_segment_size 0
		.amdhsa_wavefront_size32 1
		.amdhsa_uses_dynamic_stack 0
		.amdhsa_enable_private_segment 0
		.amdhsa_system_sgpr_workgroup_id_x 1
		.amdhsa_system_sgpr_workgroup_id_y 1
		.amdhsa_system_sgpr_workgroup_id_z 1
		.amdhsa_system_sgpr_workgroup_info 0
		.amdhsa_system_vgpr_workitem_id 1
		.amdhsa_next_free_vgpr 97
		.amdhsa_next_free_sgpr 43
		.amdhsa_reserve_vcc 1
		.amdhsa_float_round_mode_32 0
		.amdhsa_float_round_mode_16_64 0
		.amdhsa_float_denorm_mode_32 3
		.amdhsa_float_denorm_mode_16_64 3
		.amdhsa_fp16_overflow 0
		.amdhsa_workgroup_processor_mode 1
		.amdhsa_memory_ordered 1
		.amdhsa_forward_progress 1
		.amdhsa_inst_pref_size 66
		.amdhsa_round_robin_scheduling 0
		.amdhsa_exception_fp_ieee_invalid_op 0
		.amdhsa_exception_fp_denorm_src 0
		.amdhsa_exception_fp_ieee_div_zero 0
		.amdhsa_exception_fp_ieee_overflow 0
		.amdhsa_exception_fp_ieee_underflow 0
		.amdhsa_exception_fp_ieee_inexact 0
		.amdhsa_exception_int_div_zero 0
	.end_amdhsa_kernel
	.section	.text._ZL15flash_attn_tileILi192ELi128ELi2ELi8ELb0EEvPKcS1_S1_S1_S1_PKiPfP15HIP_vector_typeIfLj2EEffffjfiS5_IjLj3EEiiiiiiiiiiiliiliiiiil,"axG",@progbits,_ZL15flash_attn_tileILi192ELi128ELi2ELi8ELb0EEvPKcS1_S1_S1_S1_PKiPfP15HIP_vector_typeIfLj2EEffffjfiS5_IjLj3EEiiiiiiiiiiiliiliiiiil,comdat
.Lfunc_end13:
	.size	_ZL15flash_attn_tileILi192ELi128ELi2ELi8ELb0EEvPKcS1_S1_S1_S1_PKiPfP15HIP_vector_typeIfLj2EEffffjfiS5_IjLj3EEiiiiiiiiiiiliiliiiiil, .Lfunc_end13-_ZL15flash_attn_tileILi192ELi128ELi2ELi8ELb0EEvPKcS1_S1_S1_S1_PKiPfP15HIP_vector_typeIfLj2EEffffjfiS5_IjLj3EEiiiiiiiiiiiliiliiiiil
                                        ; -- End function
	.set _ZL15flash_attn_tileILi192ELi128ELi2ELi8ELb0EEvPKcS1_S1_S1_S1_PKiPfP15HIP_vector_typeIfLj2EEffffjfiS5_IjLj3EEiiiiiiiiiiiliiliiiiil.num_vgpr, 97
	.set _ZL15flash_attn_tileILi192ELi128ELi2ELi8ELb0EEvPKcS1_S1_S1_S1_PKiPfP15HIP_vector_typeIfLj2EEffffjfiS5_IjLj3EEiiiiiiiiiiiliiliiiiil.num_agpr, 0
	.set _ZL15flash_attn_tileILi192ELi128ELi2ELi8ELb0EEvPKcS1_S1_S1_S1_PKiPfP15HIP_vector_typeIfLj2EEffffjfiS5_IjLj3EEiiiiiiiiiiiliiliiiiil.numbered_sgpr, 43
	.set _ZL15flash_attn_tileILi192ELi128ELi2ELi8ELb0EEvPKcS1_S1_S1_S1_PKiPfP15HIP_vector_typeIfLj2EEffffjfiS5_IjLj3EEiiiiiiiiiiiliiliiiiil.num_named_barrier, 0
	.set _ZL15flash_attn_tileILi192ELi128ELi2ELi8ELb0EEvPKcS1_S1_S1_S1_PKiPfP15HIP_vector_typeIfLj2EEffffjfiS5_IjLj3EEiiiiiiiiiiiliiliiiiil.private_seg_size, 0
	.set _ZL15flash_attn_tileILi192ELi128ELi2ELi8ELb0EEvPKcS1_S1_S1_S1_PKiPfP15HIP_vector_typeIfLj2EEffffjfiS5_IjLj3EEiiiiiiiiiiiliiliiiiil.uses_vcc, 1
	.set _ZL15flash_attn_tileILi192ELi128ELi2ELi8ELb0EEvPKcS1_S1_S1_S1_PKiPfP15HIP_vector_typeIfLj2EEffffjfiS5_IjLj3EEiiiiiiiiiiiliiliiiiil.uses_flat_scratch, 0
	.set _ZL15flash_attn_tileILi192ELi128ELi2ELi8ELb0EEvPKcS1_S1_S1_S1_PKiPfP15HIP_vector_typeIfLj2EEffffjfiS5_IjLj3EEiiiiiiiiiiiliiliiiiil.has_dyn_sized_stack, 0
	.set _ZL15flash_attn_tileILi192ELi128ELi2ELi8ELb0EEvPKcS1_S1_S1_S1_PKiPfP15HIP_vector_typeIfLj2EEffffjfiS5_IjLj3EEiiiiiiiiiiiliiliiiiil.has_recursion, 0
	.set _ZL15flash_attn_tileILi192ELi128ELi2ELi8ELb0EEvPKcS1_S1_S1_S1_PKiPfP15HIP_vector_typeIfLj2EEffffjfiS5_IjLj3EEiiiiiiiiiiiliiliiiiil.has_indirect_call, 0
	.section	.AMDGPU.csdata,"",@progbits
; Kernel info:
; codeLenInByte = 8364
; TotalNumSgprs: 45
; NumVgprs: 97
; ScratchSize: 0
; MemoryBound: 0
; FloatMode: 240
; IeeeMode: 1
; LDSByteSize: 11776 bytes/workgroup (compile time only)
; SGPRBlocks: 0
; VGPRBlocks: 12
; NumSGPRsForWavesPerEU: 45
; NumVGPRsForWavesPerEU: 97
; Occupancy: 12
; WaveLimiterHint : 1
; COMPUTE_PGM_RSRC2:SCRATCH_EN: 0
; COMPUTE_PGM_RSRC2:USER_SGPR: 2
; COMPUTE_PGM_RSRC2:TRAP_HANDLER: 0
; COMPUTE_PGM_RSRC2:TGID_X_EN: 1
; COMPUTE_PGM_RSRC2:TGID_Y_EN: 1
; COMPUTE_PGM_RSRC2:TGID_Z_EN: 1
; COMPUTE_PGM_RSRC2:TIDIG_COMP_CNT: 1
	.section	.text._ZL33flash_attn_stream_k_fixup_uniformILi128ELi2ELi8EEvPfPK15HIP_vector_typeIfLj2EEiiiiiiS1_IjLj3EES5_S5_,"axG",@progbits,_ZL33flash_attn_stream_k_fixup_uniformILi128ELi2ELi8EEvPfPK15HIP_vector_typeIfLj2EEiiiiiiS1_IjLj3EES5_S5_,comdat
	.globl	_ZL33flash_attn_stream_k_fixup_uniformILi128ELi2ELi8EEvPfPK15HIP_vector_typeIfLj2EEiiiiiiS1_IjLj3EES5_S5_ ; -- Begin function _ZL33flash_attn_stream_k_fixup_uniformILi128ELi2ELi8EEvPfPK15HIP_vector_typeIfLj2EEiiiiiiS1_IjLj3EES5_S5_
	.p2align	8
	.type	_ZL33flash_attn_stream_k_fixup_uniformILi128ELi2ELi8EEvPfPK15HIP_vector_typeIfLj2EEiiiiiiS1_IjLj3EES5_S5_,@function
_ZL33flash_attn_stream_k_fixup_uniformILi128ELi2ELi8EEvPfPK15HIP_vector_typeIfLj2EEiiiiiiS1_IjLj3EES5_S5_: ; @_ZL33flash_attn_stream_k_fixup_uniformILi128ELi2ELi8EEvPfPK15HIP_vector_typeIfLj2EEiiiiiiS1_IjLj3EES5_S5_
; %bb.0:
	s_clause 0x1
	s_load_b256 s[4:11], s[0:1], 0x1c
	s_load_b128 s[12:15], s[0:1], 0x3c
	s_wait_kmcnt 0x0
	s_mul_hi_u32 s2, s7, ttmp9
	s_delay_alu instid0(SALU_CYCLE_1) | instskip(NEXT) | instid1(SALU_CYCLE_1)
	s_add_co_i32 s2, ttmp9, s2
	s_lshr_b32 s2, s2, s8
	s_delay_alu instid0(SALU_CYCLE_1) | instskip(SKIP_2) | instid1(SALU_CYCLE_1)
	s_mul_i32 s3, s2, s9
	s_load_b64 s[8:9], s[0:1], 0x10
	s_sub_co_i32 s7, ttmp9, s3
	s_mul_hi_u32 s3, s7, s10
	s_delay_alu instid0(SALU_CYCLE_1) | instskip(NEXT) | instid1(SALU_CYCLE_1)
	s_add_co_i32 s3, s7, s3
	s_lshr_b32 s3, s3, s11
	s_delay_alu instid0(SALU_CYCLE_1) | instskip(NEXT) | instid1(SALU_CYCLE_1)
	s_mul_i32 s10, s3, s12
	s_sub_co_i32 s7, s7, s10
	s_delay_alu instid0(SALU_CYCLE_1) | instskip(NEXT) | instid1(SALU_CYCLE_1)
	s_mul_hi_u32 s10, s7, s13
	s_add_co_i32 s10, s7, s10
	s_delay_alu instid0(SALU_CYCLE_1) | instskip(NEXT) | instid1(SALU_CYCLE_1)
	s_lshr_b32 s12, s10, s14
	s_mul_i32 s10, s12, s15
	s_lshl_b32 s12, s12, 3
	s_sub_co_i32 s11, s7, s10
	s_and_b32 s7, ttmp7, 0xffff
	s_lshl_b32 s13, s11, 1
	s_lshr_b32 s10, ttmp7, 16
	s_add_co_i32 s13, s13, s7
	s_wait_kmcnt 0x0
	s_cmp_lt_i32 s13, s8
	s_cselect_b32 s13, -1, 0
	s_add_co_i32 s14, s12, s10
	s_delay_alu instid0(SALU_CYCLE_1) | instskip(SKIP_1) | instid1(SALU_CYCLE_1)
	s_cmp_lt_i32 s14, s5
	s_cselect_b32 s14, -1, 0
	s_and_b32 s13, s13, s14
	s_delay_alu instid0(SALU_CYCLE_1)
	s_and_not1_b32 vcc_lo, exec_lo, s13
	s_cbranch_vccnz .LBB14_6
; %bb.1:
	s_mul_i32 s2, s2, s8
	s_mul_i32 s5, s3, s5
	s_add_co_i32 s2, s2, s7
	s_delay_alu instid0(SALU_CYCLE_1) | instskip(NEXT) | instid1(SALU_CYCLE_1)
	s_mul_i32 s2, s2, s9
	s_add_co_i32 s8, s2, s10
	s_load_b128 s[0:3], s[0:1], 0x0
	s_add_co_i32 s5, s8, s5
	s_mul_i32 s8, s9, s11
	s_add_co_i32 s5, s5, s12
	s_lshl_b32 s8, s8, 8
	s_lshl_b32 s5, s5, 7
	s_delay_alu instid0(SALU_CYCLE_1)
	s_add_co_i32 s8, s8, s5
	s_lshl_b32 s5, s7, 3
	v_or_b32_e32 v1, s8, v0
	s_mul_i32 s8, s6, ttmp9
	s_wait_alu 0xfffe
	s_add_co_i32 s9, s8, s6
	s_wait_alu 0xfffe
	s_add_co_i32 s12, s9, -2
	v_ashrrev_i32_e32 v2, 31, v1
	s_delay_alu instid0(VALU_DEP_1) | instskip(SKIP_1) | instid1(VALU_DEP_1)
	v_lshlrev_b64_e32 v[1:2], 2, v[1:2]
	s_wait_kmcnt 0x0
	v_add_co_u32 v1, vcc_lo, s0, v1
	s_delay_alu instid0(VALU_DEP_1)
	v_add_co_ci_u32_e64 v2, null, s1, v2, vcc_lo
	s_add_co_i32 s0, s5, s10
	s_lshl_b32 s1, s9, 4
	global_load_b32 v5, v[1:2], off
	s_wait_alu 0xfffe
	s_add_co_i32 s0, s0, s1
	s_wait_alu 0xfffe
	s_add_co_i32 s0, s0, -16
	s_wait_alu 0xfffe
	s_ashr_i32 s1, s0, 31
	s_wait_alu 0xfffe
	s_lshl_b64 s[0:1], s[0:1], 3
	s_cmp_lt_i32 s12, s8
	s_wait_alu 0xfffe
	s_add_nc_u64 s[0:1], s[2:3], s[0:1]
	s_load_b32 s11, s[0:1], 0x4
	s_cbranch_scc1 .LBB14_4
; %bb.2:
	s_load_b32 s0, s[0:1], 0x0
	s_add_co_i32 s13, ttmp9, 1
	s_lshl_b32 s12, s4, 6
	s_mul_i32 s1, s6, s13
	s_lshl_b32 s6, s7, 10
	s_lshl_b32 s7, s10, 7
	s_wait_alu 0xfffe
	s_lshl_b32 s14, s1, 11
	s_add_co_i32 s6, s7, s6
	s_lshl_b32 s1, s1, 4
	s_add_co_i32 s14, s6, s14
	s_wait_alu 0xfffe
	s_add_co_i32 s1, s10, s1
	v_or_b32_e32 v0, s14, v0
	s_lshl_b32 s4, s4, 4
	s_ashr_i32 s13, s12, 31
	s_wait_alu 0xfffe
	s_add_co_i32 s1, s1, s4
	s_wait_kmcnt 0x0
	v_dual_mov_b32 v6, s11 :: v_dual_add_nc_u32 v3, 0xfffff000, v0
	s_lshl_b64 s[6:7], s[12:13], 2
	s_wait_alu 0xfffe
	s_add_co_i32 s4, s1, s5
	s_add_nc_u64 s[6:7], s[2:3], s[6:7]
	s_add_co_i32 s1, s9, -1
	s_sub_co_i32 s4, s4, 32
.LBB14_3:                               ; =>This Inner Loop Header: Depth=1
	v_ashrrev_i32_e32 v4, 31, v3
	s_ashr_i32 s5, s4, 31
	v_mov_b32_e32 v10, v6
	s_lshl_b64 s[10:11], s[4:5], 3
	s_wait_loadcnt 0x0
	v_mov_b32_e32 v9, v5
	v_lshlrev_b64_e32 v[7:8], 2, v[3:4]
	s_wait_alu 0xfffe
	s_add_nc_u64 s[10:11], s[2:3], s[10:11]
	v_max_num_f32_e64 v4, s0, s0
	s_load_b64 s[10:11], s[10:11], 0x0
	v_add_nc_u32_e32 v3, 0xfffff800, v3
	v_add_co_u32 v7, vcc_lo, s6, v7
	s_wait_alu 0xfffd
	v_add_co_ci_u32_e64 v8, null, s7, v8, vcc_lo
	v_readfirstlane_b32 s5, v4
	global_load_b32 v0, v[7:8], off
	s_wait_kmcnt 0x0
	v_max_num_f32_e64 v4, s10, s10
	s_delay_alu instid0(VALU_DEP_1) | instskip(SKIP_1) | instid1(SALU_CYCLE_3)
	v_readfirstlane_b32 s9, v4
	s_max_num_f32 s5, s5, s9
	s_sub_f32 s0, s0, s5
	s_sub_f32 s9, s10, s5
	s_wait_alu 0xfffe
	s_delay_alu instid0(SALU_CYCLE_1) | instskip(NEXT) | instid1(SALU_CYCLE_1)
	s_mul_f32 s10, s0, 0x3fb8aa3b
	s_mul_f32 s12, s9, 0x3fb8aa3b
	s_wait_alu 0xfffe
	s_delay_alu instid0(SALU_CYCLE_1)
	s_xor_b32 s13, s10, 0x80000000
	s_rndne_f32 s14, s10
	s_fmamk_f32 s13, s0, 0x3fb8aa3b, s13
	s_cmp_nlt_f32 s0, 0xc2ce8ed0
	s_rndne_f32 s15, s12
	s_wait_alu 0xfffe
	s_sub_f32 s10, s10, s14
	s_fmamk_f32 s13, s0, 0x32a5705f, s13
	s_cvt_i32_f32 s14, s14
	s_cselect_b32 vcc_lo, -1, 0
	s_cmp_ngt_f32 s0, 0x42b17218
	s_wait_alu 0xfffe
	s_add_f32 s10, s10, s13
	s_sub_f32 s13, s12, s15
	s_wait_alu 0xfffe
	s_delay_alu instid0(SALU_CYCLE_1) | instskip(SKIP_1) | instid1(TRANS32_DEP_1)
	v_s_exp_f32 s10, s10
	s_wait_alu 0xf1ff
	v_ldexp_f32 v4, s10, s14
	s_cvt_i32_f32 s10, s15
	s_delay_alu instid0(VALU_DEP_1) | instskip(SKIP_3) | instid1(VALU_DEP_1)
	v_cndmask_b32_e32 v4, 0, v4, vcc_lo
	s_cselect_b32 vcc_lo, -1, 0
	s_cmp_ge_f32 s0, 0xc1a00000
	s_wait_alu 0xfffe
	v_cndmask_b32_e32 v4, 0x7f800000, v4, vcc_lo
	s_cselect_b32 vcc_lo, -1, 0
	s_xor_b32 s0, s12, 0x80000000
	s_cmp_nlt_f32 s9, 0xc2ce8ed0
	s_wait_alu 0xfffe
	s_fmamk_f32 s0, s9, 0x3fb8aa3b, s0
	s_wait_alu 0xfffe
	s_delay_alu instid0(SALU_CYCLE_2) | instskip(SKIP_1) | instid1(SALU_CYCLE_2)
	s_fmamk_f32 s0, s9, 0x32a5705f, s0
	s_wait_alu 0xfffe
	s_add_f32 s0, s13, s0
	s_wait_alu 0xfffe
	s_delay_alu instid0(SALU_CYCLE_2) | instskip(SKIP_1) | instid1(TRANS32_DEP_1)
	v_s_exp_f32 s0, s0
	s_wait_alu 0xf1ff
	v_ldexp_f32 v7, s0, s10
	s_cselect_b32 s0, -1, 0
	s_cmp_ngt_f32 s9, 0x42b17218
	s_wait_alu 0xfffe
	s_delay_alu instid0(VALU_DEP_1) | instskip(SKIP_3) | instid1(VALU_DEP_1)
	v_cndmask_b32_e64 v7, 0, v7, s0
	s_cselect_b32 s0, -1, 0
	s_cmp_ge_f32 s9, 0xc1a00000
	s_wait_alu 0xfffe
	v_cndmask_b32_e64 v7, 0x7f800000, v7, s0
	s_cselect_b32 s0, -1, 0
	s_add_co_i32 s1, s1, -1
	s_add_co_i32 s4, s4, -16
	s_wait_alu 0xfffe
	s_cmp_le_i32 s1, s8
	v_cndmask_b32_e64 v7, 0, v7, s0
	s_mov_b32 s0, s5
	s_wait_loadcnt 0x0
	s_delay_alu instid0(VALU_DEP_1) | instskip(NEXT) | instid1(VALU_DEP_1)
	v_dual_mul_f32 v5, v0, v7 :: v_dual_cndmask_b32 v4, 0, v4
	v_dual_mul_f32 v8, s11, v7 :: v_dual_fmac_f32 v5, v9, v4
	s_delay_alu instid0(VALU_DEP_1) | instskip(NEXT) | instid1(VALU_DEP_1)
	v_mov_b32_e32 v6, v8
	v_fmac_f32_e32 v6, v10, v4
	s_cbranch_scc0 .LBB14_3
	s_branch .LBB14_5
.LBB14_4:
	s_wait_kmcnt 0x0
	v_mov_b32_e32 v6, s11
.LBB14_5:
	s_wait_loadcnt 0x0
	s_delay_alu instid0(VALU_DEP_1) | instskip(NEXT) | instid1(VALU_DEP_1)
	v_div_scale_f32 v0, null, v6, v6, v5
	v_rcp_f32_e32 v3, v0
	s_delay_alu instid0(TRANS32_DEP_1) | instskip(NEXT) | instid1(VALU_DEP_1)
	v_fma_f32 v4, -v0, v3, 1.0
	v_fmac_f32_e32 v3, v4, v3
	v_div_scale_f32 v4, vcc_lo, v5, v6, v5
	s_delay_alu instid0(VALU_DEP_1) | instskip(NEXT) | instid1(VALU_DEP_1)
	v_mul_f32_e32 v7, v4, v3
	v_fma_f32 v8, -v0, v7, v4
	s_delay_alu instid0(VALU_DEP_1) | instskip(NEXT) | instid1(VALU_DEP_1)
	v_fmac_f32_e32 v7, v8, v3
	v_fma_f32 v0, -v0, v7, v4
	s_wait_alu 0xfffd
	s_delay_alu instid0(VALU_DEP_1) | instskip(NEXT) | instid1(VALU_DEP_1)
	v_div_fmas_f32 v0, v0, v3, v7
	v_div_fixup_f32 v0, v0, v6, v5
	global_store_b32 v[1:2], v0, off
.LBB14_6:
	s_endpgm
	.section	.rodata,"a",@progbits
	.p2align	6, 0x0
	.amdhsa_kernel _ZL33flash_attn_stream_k_fixup_uniformILi128ELi2ELi8EEvPfPK15HIP_vector_typeIfLj2EEiiiiiiS1_IjLj3EES5_S5_
		.amdhsa_group_segment_fixed_size 0
		.amdhsa_private_segment_fixed_size 0
		.amdhsa_kernarg_size 76
		.amdhsa_user_sgpr_count 2
		.amdhsa_user_sgpr_dispatch_ptr 0
		.amdhsa_user_sgpr_queue_ptr 0
		.amdhsa_user_sgpr_kernarg_segment_ptr 1
		.amdhsa_user_sgpr_dispatch_id 0
		.amdhsa_user_sgpr_private_segment_size 0
		.amdhsa_wavefront_size32 1
		.amdhsa_uses_dynamic_stack 0
		.amdhsa_enable_private_segment 0
		.amdhsa_system_sgpr_workgroup_id_x 1
		.amdhsa_system_sgpr_workgroup_id_y 1
		.amdhsa_system_sgpr_workgroup_id_z 1
		.amdhsa_system_sgpr_workgroup_info 0
		.amdhsa_system_vgpr_workitem_id 0
		.amdhsa_next_free_vgpr 11
		.amdhsa_next_free_sgpr 16
		.amdhsa_reserve_vcc 1
		.amdhsa_float_round_mode_32 0
		.amdhsa_float_round_mode_16_64 0
		.amdhsa_float_denorm_mode_32 3
		.amdhsa_float_denorm_mode_16_64 3
		.amdhsa_fp16_overflow 0
		.amdhsa_workgroup_processor_mode 1
		.amdhsa_memory_ordered 1
		.amdhsa_forward_progress 1
		.amdhsa_inst_pref_size 9
		.amdhsa_round_robin_scheduling 0
		.amdhsa_exception_fp_ieee_invalid_op 0
		.amdhsa_exception_fp_denorm_src 0
		.amdhsa_exception_fp_ieee_div_zero 0
		.amdhsa_exception_fp_ieee_overflow 0
		.amdhsa_exception_fp_ieee_underflow 0
		.amdhsa_exception_fp_ieee_inexact 0
		.amdhsa_exception_int_div_zero 0
	.end_amdhsa_kernel
	.section	.text._ZL33flash_attn_stream_k_fixup_uniformILi128ELi2ELi8EEvPfPK15HIP_vector_typeIfLj2EEiiiiiiS1_IjLj3EES5_S5_,"axG",@progbits,_ZL33flash_attn_stream_k_fixup_uniformILi128ELi2ELi8EEvPfPK15HIP_vector_typeIfLj2EEiiiiiiS1_IjLj3EES5_S5_,comdat
.Lfunc_end14:
	.size	_ZL33flash_attn_stream_k_fixup_uniformILi128ELi2ELi8EEvPfPK15HIP_vector_typeIfLj2EEiiiiiiS1_IjLj3EES5_S5_, .Lfunc_end14-_ZL33flash_attn_stream_k_fixup_uniformILi128ELi2ELi8EEvPfPK15HIP_vector_typeIfLj2EEiiiiiiS1_IjLj3EES5_S5_
                                        ; -- End function
	.set _ZL33flash_attn_stream_k_fixup_uniformILi128ELi2ELi8EEvPfPK15HIP_vector_typeIfLj2EEiiiiiiS1_IjLj3EES5_S5_.num_vgpr, 11
	.set _ZL33flash_attn_stream_k_fixup_uniformILi128ELi2ELi8EEvPfPK15HIP_vector_typeIfLj2EEiiiiiiS1_IjLj3EES5_S5_.num_agpr, 0
	.set _ZL33flash_attn_stream_k_fixup_uniformILi128ELi2ELi8EEvPfPK15HIP_vector_typeIfLj2EEiiiiiiS1_IjLj3EES5_S5_.numbered_sgpr, 16
	.set _ZL33flash_attn_stream_k_fixup_uniformILi128ELi2ELi8EEvPfPK15HIP_vector_typeIfLj2EEiiiiiiS1_IjLj3EES5_S5_.num_named_barrier, 0
	.set _ZL33flash_attn_stream_k_fixup_uniformILi128ELi2ELi8EEvPfPK15HIP_vector_typeIfLj2EEiiiiiiS1_IjLj3EES5_S5_.private_seg_size, 0
	.set _ZL33flash_attn_stream_k_fixup_uniformILi128ELi2ELi8EEvPfPK15HIP_vector_typeIfLj2EEiiiiiiS1_IjLj3EES5_S5_.uses_vcc, 1
	.set _ZL33flash_attn_stream_k_fixup_uniformILi128ELi2ELi8EEvPfPK15HIP_vector_typeIfLj2EEiiiiiiS1_IjLj3EES5_S5_.uses_flat_scratch, 0
	.set _ZL33flash_attn_stream_k_fixup_uniformILi128ELi2ELi8EEvPfPK15HIP_vector_typeIfLj2EEiiiiiiS1_IjLj3EES5_S5_.has_dyn_sized_stack, 0
	.set _ZL33flash_attn_stream_k_fixup_uniformILi128ELi2ELi8EEvPfPK15HIP_vector_typeIfLj2EEiiiiiiS1_IjLj3EES5_S5_.has_recursion, 0
	.set _ZL33flash_attn_stream_k_fixup_uniformILi128ELi2ELi8EEvPfPK15HIP_vector_typeIfLj2EEiiiiiiS1_IjLj3EES5_S5_.has_indirect_call, 0
	.section	.AMDGPU.csdata,"",@progbits
; Kernel info:
; codeLenInByte = 1140
; TotalNumSgprs: 18
; NumVgprs: 11
; ScratchSize: 0
; MemoryBound: 0
; FloatMode: 240
; IeeeMode: 1
; LDSByteSize: 0 bytes/workgroup (compile time only)
; SGPRBlocks: 0
; VGPRBlocks: 1
; NumSGPRsForWavesPerEU: 18
; NumVGPRsForWavesPerEU: 11
; Occupancy: 16
; WaveLimiterHint : 0
; COMPUTE_PGM_RSRC2:SCRATCH_EN: 0
; COMPUTE_PGM_RSRC2:USER_SGPR: 2
; COMPUTE_PGM_RSRC2:TRAP_HANDLER: 0
; COMPUTE_PGM_RSRC2:TGID_X_EN: 1
; COMPUTE_PGM_RSRC2:TGID_Y_EN: 1
; COMPUTE_PGM_RSRC2:TGID_Z_EN: 1
; COMPUTE_PGM_RSRC2:TIDIG_COMP_CNT: 0
	.section	.text._ZL33flash_attn_stream_k_fixup_generalILi128ELi2ELi8EEvPfPK15HIP_vector_typeIfLj2EEiiiiS1_IjLj3EES5_S5_S5_,"axG",@progbits,_ZL33flash_attn_stream_k_fixup_generalILi128ELi2ELi8EEvPfPK15HIP_vector_typeIfLj2EEiiiiS1_IjLj3EES5_S5_S5_,comdat
	.globl	_ZL33flash_attn_stream_k_fixup_generalILi128ELi2ELi8EEvPfPK15HIP_vector_typeIfLj2EEiiiiS1_IjLj3EES5_S5_S5_ ; -- Begin function _ZL33flash_attn_stream_k_fixup_generalILi128ELi2ELi8EEvPfPK15HIP_vector_typeIfLj2EEiiiiS1_IjLj3EES5_S5_S5_
	.p2align	8
	.type	_ZL33flash_attn_stream_k_fixup_generalILi128ELi2ELi8EEvPfPK15HIP_vector_typeIfLj2EEiiiiS1_IjLj3EES5_S5_S5_,@function
_ZL33flash_attn_stream_k_fixup_generalILi128ELi2ELi8EEvPfPK15HIP_vector_typeIfLj2EEiiiiS1_IjLj3EES5_S5_S5_: ; @_ZL33flash_attn_stream_k_fixup_generalILi128ELi2ELi8EEvPfPK15HIP_vector_typeIfLj2EEiiiiS1_IjLj3EES5_S5_S5_
; %bb.0:
	s_clause 0x1
	s_load_b128 s[4:7], s[0:1], 0x10
	s_load_b32 s16, s[0:1], 0x50
	s_mov_b32 s2, ttmp9
	s_ashr_i32 s3, ttmp9, 31
	s_mov_b32 s17, 0
	s_delay_alu instid0(SALU_CYCLE_1) | instskip(SKIP_3) | instid1(SALU_CYCLE_1)
	s_mov_b32 s8, s17
	s_wait_kmcnt 0x0
	s_ashr_i32 s19, s7, 31
	s_mov_b32 s18, s7
	s_mul_u64 s[2:3], s[18:19], s[2:3]
	s_delay_alu instid0(SALU_CYCLE_1) | instskip(NEXT) | instid1(SALU_CYCLE_1)
	s_mov_b32 s9, s3
	s_cmp_lg_u64 s[8:9], 0
	s_cbranch_scc0 .LBB15_21
; %bb.1:
	s_add_nc_u64 s[8:9], s[16:17], 0
	s_mov_b32 s15, s17
	s_xor_b64 s[8:9], s[8:9], 0
	s_mov_b32 s23, s17
	s_cvt_f32_u32 s7, s8
	s_cvt_f32_u32 s10, s9
	s_sub_nc_u64 s[12:13], 0, s[8:9]
	s_delay_alu instid0(SALU_CYCLE_2) | instskip(NEXT) | instid1(SALU_CYCLE_3)
	s_fmamk_f32 s7, s10, 0x4f800000, s7
	v_s_rcp_f32 s7, s7
	s_delay_alu instid0(TRANS32_DEP_1) | instskip(SKIP_1) | instid1(SALU_CYCLE_2)
	s_mul_f32 s7, s7, 0x5f7ffffc
	s_wait_alu 0xfffe
	s_mul_f32 s10, s7, 0x2f800000
	s_delay_alu instid0(SALU_CYCLE_3) | instskip(NEXT) | instid1(SALU_CYCLE_3)
	s_trunc_f32 s10, s10
	s_fmamk_f32 s7, s10, 0xcf800000, s7
	s_cvt_u32_f32 s11, s10
	s_wait_alu 0xfffe
	s_delay_alu instid0(SALU_CYCLE_1) | instskip(NEXT) | instid1(SALU_CYCLE_3)
	s_cvt_u32_f32 s10, s7
	s_mul_u64 s[20:21], s[12:13], s[10:11]
	s_delay_alu instid0(SALU_CYCLE_1)
	s_mul_hi_u32 s25, s10, s21
	s_mul_i32 s24, s10, s21
	s_mul_hi_u32 s14, s10, s20
	s_mul_i32 s22, s11, s20
	s_add_nc_u64 s[14:15], s[14:15], s[24:25]
	s_mul_hi_u32 s7, s11, s20
	s_mul_hi_u32 s26, s11, s21
	s_add_co_u32 s14, s14, s22
	s_wait_alu 0xfffe
	s_add_co_ci_u32 s22, s15, s7
	s_mul_i32 s20, s11, s21
	s_add_co_ci_u32 s21, s26, 0
	s_delay_alu instid0(SALU_CYCLE_1)
	s_add_nc_u64 s[14:15], s[22:23], s[20:21]
	s_mov_b32 s21, s17
	s_add_co_u32 s10, s10, s14
	s_cselect_b32 s7, -1, 0
	s_wait_alu 0xfffe
	s_cmp_lg_u32 s7, 0
	s_add_co_ci_u32 s11, s11, s15
	s_mov_b32 s15, s17
	s_mul_u64 s[12:13], s[12:13], s[10:11]
	s_delay_alu instid0(SALU_CYCLE_1)
	s_mul_hi_u32 s23, s10, s13
	s_mul_i32 s22, s10, s13
	s_mul_hi_u32 s14, s10, s12
	s_mul_i32 s20, s11, s12
	s_add_nc_u64 s[14:15], s[14:15], s[22:23]
	s_mul_hi_u32 s7, s11, s12
	s_mul_hi_u32 s24, s11, s13
	s_mul_i32 s12, s11, s13
	s_add_co_u32 s13, s14, s20
	s_wait_alu 0xfffe
	s_add_co_ci_u32 s20, s15, s7
	s_add_co_ci_u32 s13, s24, 0
	s_mov_b32 s15, s17
	s_add_nc_u64 s[12:13], s[20:21], s[12:13]
	s_delay_alu instid0(SALU_CYCLE_1) | instskip(SKIP_1) | instid1(SALU_CYCLE_1)
	s_add_co_u32 s7, s10, s12
	s_cselect_b32 s10, -1, 0
	s_cmp_lg_u32 s10, 0
	s_add_co_ci_u32 s20, s11, s13
	s_ashr_i32 s10, s3, 31
	s_delay_alu instid0(SALU_CYCLE_1) | instskip(NEXT) | instid1(SALU_CYCLE_1)
	s_mov_b32 s11, s10
	s_add_nc_u64 s[12:13], s[2:3], s[10:11]
	s_delay_alu instid0(SALU_CYCLE_1) | instskip(NEXT) | instid1(SALU_CYCLE_1)
	s_xor_b64 s[12:13], s[12:13], s[10:11]
	s_mul_hi_u32 s23, s12, s20
	s_mul_i32 s22, s12, s20
	s_wait_alu 0xfffe
	s_mul_hi_u32 s14, s12, s7
	s_mul_hi_u32 s24, s13, s7
	s_mul_i32 s7, s13, s7
	s_add_nc_u64 s[14:15], s[14:15], s[22:23]
	s_mul_hi_u32 s3, s13, s20
	s_wait_alu 0xfffe
	s_add_co_u32 s7, s14, s7
	s_mul_i32 s22, s13, s20
	s_add_co_ci_u32 s20, s15, s24
	s_add_co_ci_u32 s23, s3, 0
	s_delay_alu instid0(SALU_CYCLE_1) | instskip(NEXT) | instid1(SALU_CYCLE_1)
	s_add_nc_u64 s[14:15], s[20:21], s[22:23]
	s_mul_u64 s[20:21], s[8:9], s[14:15]
	s_delay_alu instid0(SALU_CYCLE_1)
	s_sub_co_u32 s3, s12, s20
	s_cselect_b32 s7, -1, 0
	s_sub_co_i32 s12, s13, s21
	s_wait_alu 0xfffe
	s_cmp_lg_u32 s7, 0
	s_sub_co_ci_u32 s12, s12, s9
	s_sub_co_u32 s20, s3, s8
	s_cselect_b32 s22, -1, 0
	s_delay_alu instid0(SALU_CYCLE_1) | instskip(SKIP_2) | instid1(SALU_CYCLE_1)
	s_cmp_lg_u32 s22, 0
	s_add_nc_u64 s[22:23], s[14:15], 1
	s_sub_co_ci_u32 s12, s12, 0
	s_cmp_ge_u32 s12, s9
	s_cselect_b32 s24, -1, 0
	s_cmp_ge_u32 s20, s8
	s_cselect_b32 s20, -1, 0
	s_cmp_eq_u32 s12, s9
	s_cselect_b32 s12, s20, s24
	s_add_nc_u64 s[24:25], s[14:15], 2
	s_cmp_lg_u32 s12, 0
	s_cselect_b32 s12, s24, s22
	s_cselect_b32 s20, s25, s23
	s_cmp_lg_u32 s7, 0
	s_sub_co_ci_u32 s7, s13, s21
	s_wait_alu 0xfffe
	s_cmp_ge_u32 s7, s9
	s_cselect_b32 s13, -1, 0
	s_cmp_ge_u32 s3, s8
	s_cselect_b32 s3, -1, 0
	s_cmp_eq_u32 s7, s9
	s_cselect_b32 s3, s3, s13
	s_delay_alu instid0(SALU_CYCLE_1) | instskip(SKIP_4) | instid1(SALU_CYCLE_1)
	s_cmp_lg_u32 s3, 0
	s_mov_b32 s3, s17
	s_cselect_b32 s9, s20, s15
	s_cselect_b32 s8, s12, s14
	s_xor_b64 s[10:11], s[10:11], 0
	s_xor_b64 s[8:9], s[8:9], s[10:11]
	s_delay_alu instid0(SALU_CYCLE_1)
	s_sub_nc_u64 s[20:21], s[8:9], s[10:11]
	s_and_not1_b32 vcc_lo, exec_lo, s3
	s_cbranch_vccnz .LBB15_3
.LBB15_2:
	v_cvt_f32_u32_e32 v1, s16
	s_sub_co_i32 s7, 0, s16
	s_delay_alu instid0(VALU_DEP_1) | instskip(NEXT) | instid1(TRANS32_DEP_1)
	v_rcp_iflag_f32_e32 v1, v1
	v_mul_f32_e32 v1, 0x4f7ffffe, v1
	s_delay_alu instid0(VALU_DEP_1) | instskip(NEXT) | instid1(VALU_DEP_1)
	v_cvt_u32_f32_e32 v1, v1
	v_readfirstlane_b32 s3, v1
	s_wait_alu 0xfffe
	s_mul_i32 s7, s7, s3
	s_wait_alu 0xfffe
	s_mul_hi_u32 s7, s3, s7
	s_wait_alu 0xfffe
	s_add_co_i32 s3, s3, s7
	s_delay_alu instid0(SALU_CYCLE_1) | instskip(NEXT) | instid1(SALU_CYCLE_1)
	s_mul_hi_u32 s3, s2, s3
	s_mul_i32 s7, s3, s16
	s_wait_alu 0xfffe
	s_sub_co_i32 s2, s2, s7
	s_add_co_i32 s7, s3, 1
	s_sub_co_i32 s8, s2, s16
	s_cmp_ge_u32 s2, s16
	s_wait_alu 0xfffe
	s_cselect_b32 s3, s7, s3
	s_cselect_b32 s2, s8, s2
	s_add_co_i32 s7, s3, 1
	s_cmp_ge_u32 s2, s16
	s_wait_alu 0xfffe
	s_cselect_b32 s20, s7, s3
.LBB15_3:
	s_add_co_i32 s2, ttmp9, 1
	s_mov_b32 s8, 0
	s_ashr_i32 s3, s2, 31
	s_delay_alu instid0(SALU_CYCLE_1) | instskip(NEXT) | instid1(SALU_CYCLE_1)
	s_mul_u64 s[2:3], s[18:19], s[2:3]
	s_mov_b32 s9, s3
	s_delay_alu instid0(SALU_CYCLE_1)
	s_cmp_lg_u64 s[8:9], 0
	s_cbranch_scc0 .LBB15_22
; %bb.4:
	s_add_nc_u64 s[10:11], s[16:17], 0
	s_mov_b32 s23, s8
	s_xor_b64 s[10:11], s[10:11], 0
	s_mov_b32 s27, s8
	s_cvt_f32_u32 s7, s10
	s_cvt_f32_u32 s9, s11
	s_sub_nc_u64 s[14:15], 0, s[10:11]
	s_wait_alu 0xfffe
	s_delay_alu instid0(SALU_CYCLE_1) | instskip(SKIP_1) | instid1(SALU_CYCLE_2)
	s_fmamk_f32 s7, s9, 0x4f800000, s7
	s_wait_alu 0xfffe
	v_s_rcp_f32 s7, s7
	s_delay_alu instid0(TRANS32_DEP_1) | instskip(SKIP_1) | instid1(SALU_CYCLE_2)
	s_mul_f32 s7, s7, 0x5f7ffffc
	s_wait_alu 0xfffe
	s_mul_f32 s9, s7, 0x2f800000
	s_delay_alu instid0(SALU_CYCLE_3) | instskip(NEXT) | instid1(SALU_CYCLE_3)
	s_trunc_f32 s9, s9
	s_fmamk_f32 s7, s9, 0xcf800000, s7
	s_cvt_u32_f32 s13, s9
	s_wait_alu 0xfffe
	s_delay_alu instid0(SALU_CYCLE_1) | instskip(NEXT) | instid1(SALU_CYCLE_3)
	s_cvt_u32_f32 s12, s7
	s_mul_u64 s[24:25], s[14:15], s[12:13]
	s_delay_alu instid0(SALU_CYCLE_1)
	s_mul_hi_u32 s29, s12, s25
	s_mul_i32 s28, s12, s25
	s_mul_hi_u32 s22, s12, s24
	s_mul_i32 s9, s13, s24
	s_add_nc_u64 s[22:23], s[22:23], s[28:29]
	s_mul_hi_u32 s7, s13, s24
	s_mul_hi_u32 s21, s13, s25
	s_add_co_u32 s9, s22, s9
	s_wait_alu 0xfffe
	s_add_co_ci_u32 s26, s23, s7
	s_mul_i32 s24, s13, s25
	s_add_co_ci_u32 s25, s21, 0
	s_delay_alu instid0(SALU_CYCLE_1)
	s_add_nc_u64 s[22:23], s[26:27], s[24:25]
	s_mov_b32 s25, s8
	s_add_co_u32 s12, s12, s22
	s_cselect_b32 s7, -1, 0
	s_wait_alu 0xfffe
	s_cmp_lg_u32 s7, 0
	s_add_co_ci_u32 s13, s13, s23
	s_mov_b32 s23, s8
	s_mul_u64 s[14:15], s[14:15], s[12:13]
	s_delay_alu instid0(SALU_CYCLE_1)
	s_mul_hi_u32 s27, s12, s15
	s_mul_i32 s26, s12, s15
	s_mul_hi_u32 s22, s12, s14
	s_mul_i32 s9, s13, s14
	s_add_nc_u64 s[22:23], s[22:23], s[26:27]
	s_mul_hi_u32 s7, s13, s14
	s_mul_hi_u32 s21, s13, s15
	s_add_co_u32 s9, s22, s9
	s_wait_alu 0xfffe
	s_add_co_ci_u32 s24, s23, s7
	s_mul_i32 s14, s13, s15
	s_add_co_ci_u32 s15, s21, 0
	s_mov_b32 s23, s8
	s_add_nc_u64 s[14:15], s[24:25], s[14:15]
	s_delay_alu instid0(SALU_CYCLE_1) | instskip(SKIP_1) | instid1(SALU_CYCLE_1)
	s_add_co_u32 s7, s12, s14
	s_cselect_b32 s9, -1, 0
	s_cmp_lg_u32 s9, 0
	s_add_co_ci_u32 s9, s13, s15
	s_ashr_i32 s12, s3, 31
	s_delay_alu instid0(SALU_CYCLE_1) | instskip(NEXT) | instid1(SALU_CYCLE_1)
	s_mov_b32 s13, s12
	s_add_nc_u64 s[14:15], s[2:3], s[12:13]
	s_delay_alu instid0(SALU_CYCLE_1) | instskip(NEXT) | instid1(SALU_CYCLE_1)
	s_xor_b64 s[14:15], s[14:15], s[12:13]
	s_mul_hi_u32 s27, s14, s9
	s_mul_i32 s26, s14, s9
	s_wait_alu 0xfffe
	s_mul_hi_u32 s22, s14, s7
	s_mul_hi_u32 s21, s15, s7
	s_mul_i32 s7, s15, s7
	s_add_nc_u64 s[22:23], s[22:23], s[26:27]
	s_mul_hi_u32 s3, s15, s9
	s_wait_alu 0xfffe
	s_add_co_u32 s7, s22, s7
	s_add_co_ci_u32 s24, s23, s21
	s_mul_i32 s26, s15, s9
	s_add_co_ci_u32 s27, s3, 0
	s_delay_alu instid0(SALU_CYCLE_1) | instskip(NEXT) | instid1(SALU_CYCLE_1)
	s_add_nc_u64 s[22:23], s[24:25], s[26:27]
	s_mul_u64 s[24:25], s[10:11], s[22:23]
	s_add_nc_u64 s[26:27], s[22:23], 1
	s_sub_co_u32 s3, s14, s24
	s_cselect_b32 s7, -1, 0
	s_sub_co_i32 s9, s15, s25
	s_wait_alu 0xfffe
	s_cmp_lg_u32 s7, 0
	s_add_nc_u64 s[28:29], s[22:23], 2
	s_sub_co_ci_u32 s9, s9, s11
	s_sub_co_u32 s14, s3, s10
	s_cselect_b32 s21, -1, 0
	s_delay_alu instid0(SALU_CYCLE_1) | instskip(SKIP_1) | instid1(SALU_CYCLE_1)
	s_cmp_lg_u32 s21, 0
	s_sub_co_ci_u32 s9, s9, 0
	s_cmp_ge_u32 s9, s11
	s_cselect_b32 s21, -1, 0
	s_cmp_ge_u32 s14, s10
	s_cselect_b32 s14, -1, 0
	s_cmp_eq_u32 s9, s11
	s_cselect_b32 s9, s14, s21
	s_delay_alu instid0(SALU_CYCLE_1)
	s_cmp_lg_u32 s9, 0
	s_cselect_b32 s9, s28, s26
	s_cselect_b32 s14, s29, s27
	s_cmp_lg_u32 s7, 0
	s_sub_co_ci_u32 s7, s15, s25
	s_wait_alu 0xfffe
	s_cmp_ge_u32 s7, s11
	s_cselect_b32 s15, -1, 0
	s_cmp_ge_u32 s3, s10
	s_cselect_b32 s3, -1, 0
	s_cmp_eq_u32 s7, s11
	s_cselect_b32 s3, s3, s15
	s_delay_alu instid0(SALU_CYCLE_1) | instskip(SKIP_3) | instid1(SALU_CYCLE_1)
	s_cmp_lg_u32 s3, 0
	s_cselect_b32 s11, s14, s23
	s_cselect_b32 s10, s9, s22
	s_xor_b64 s[12:13], s[12:13], 0
	s_xor_b64 s[10:11], s[10:11], s[12:13]
	s_delay_alu instid0(SALU_CYCLE_1)
	s_sub_nc_u64 s[10:11], s[10:11], s[12:13]
	s_load_b96 s[12:14], s[0:1], 0x44
	s_and_not1_b32 vcc_lo, exec_lo, s8
	s_cbranch_vccnz .LBB15_6
.LBB15_5:
	v_cvt_f32_u32_e32 v1, s16
	s_sub_co_i32 s7, 0, s16
	s_delay_alu instid0(VALU_DEP_1) | instskip(NEXT) | instid1(TRANS32_DEP_1)
	v_rcp_iflag_f32_e32 v1, v1
	v_mul_f32_e32 v1, 0x4f7ffffe, v1
	s_delay_alu instid0(VALU_DEP_1) | instskip(NEXT) | instid1(VALU_DEP_1)
	v_cvt_u32_f32_e32 v1, v1
	v_readfirstlane_b32 s3, v1
	s_wait_alu 0xfffe
	s_mul_i32 s7, s7, s3
	s_wait_alu 0xfffe
	s_mul_hi_u32 s7, s3, s7
	s_wait_alu 0xfffe
	s_add_co_i32 s3, s3, s7
	s_delay_alu instid0(SALU_CYCLE_1) | instskip(NEXT) | instid1(SALU_CYCLE_1)
	s_mul_hi_u32 s3, s2, s3
	s_mul_i32 s7, s3, s16
	s_wait_alu 0xfffe
	s_sub_co_i32 s2, s2, s7
	s_add_co_i32 s7, s3, 1
	s_sub_co_i32 s8, s2, s16
	s_cmp_ge_u32 s2, s16
	s_wait_alu 0xfffe
	s_cselect_b32 s3, s7, s3
	s_cselect_b32 s2, s8, s2
	s_add_co_i32 s7, s3, 1
	s_cmp_ge_u32 s2, s16
	s_wait_alu 0xfffe
	s_cselect_b32 s10, s7, s3
.LBB15_6:
	s_mov_b32 s21, 0
	s_wait_kmcnt 0x0
	s_mov_b32 s22, s12
	s_mov_b32 s23, s21
	s_cmp_eq_u32 s20, s10
	s_mul_u64 s[2:3], s[20:21], s[22:23]
	s_cselect_b32 s7, -1, 0
	s_add_co_i32 s2, s3, s20
	s_mov_b32 s11, s21
	s_lshr_b32 s12, s2, s13
	s_mul_u64 s[2:3], s[10:11], s[22:23]
	s_mul_i32 s2, s12, s14
	s_delay_alu instid0(SALU_CYCLE_1) | instskip(SKIP_2) | instid1(SALU_CYCLE_1)
	s_cmp_eq_u32 s2, s20
	s_cselect_b32 s2, -1, 0
	s_add_co_i32 s3, s3, s10
	s_lshr_b32 s3, s3, s13
	s_delay_alu instid0(SALU_CYCLE_1)
	s_cmp_eq_u32 s12, s3
	s_mul_i32 s3, s3, s14
	s_cselect_b32 s8, -1, 0
	s_cmp_lg_u32 s3, s10
	s_cselect_b32 s3, -1, 0
	s_wait_alu 0xfffe
	s_or_b32 s2, s7, s2
	s_and_b32 s3, s8, s3
	s_delay_alu instid0(SALU_CYCLE_1) | instskip(NEXT) | instid1(SALU_CYCLE_1)
	s_or_b32 s2, s2, s3
	s_and_b32 vcc_lo, exec_lo, s2
	s_cbranch_vccnz .LBB15_24
; %bb.7:
	s_load_b256 s[24:31], s[0:1], 0x20
	s_mov_b32 s3, s21
	s_wait_kmcnt 0x0
	s_mov_b32 s2, s24
	s_delay_alu instid0(SALU_CYCLE_1) | instskip(NEXT) | instid1(SALU_CYCLE_1)
	s_mul_u64 s[2:3], s[20:21], s[2:3]
	s_add_co_i32 s2, s3, s20
	s_delay_alu instid0(SALU_CYCLE_1) | instskip(SKIP_2) | instid1(SALU_CYCLE_1)
	s_lshr_b32 s7, s2, s25
	s_load_b32 s2, s[0:1], 0x40
	s_mul_i32 s3, s7, s26
	s_sub_co_i32 s3, s20, s3
	s_delay_alu instid0(SALU_CYCLE_1) | instskip(NEXT) | instid1(SALU_CYCLE_1)
	s_mul_hi_u32 s8, s3, s27
	s_add_co_i32 s8, s3, s8
	s_delay_alu instid0(SALU_CYCLE_1) | instskip(NEXT) | instid1(SALU_CYCLE_1)
	s_lshr_b32 s8, s8, s28
	s_mul_i32 s9, s8, s29
	s_delay_alu instid0(SALU_CYCLE_1) | instskip(NEXT) | instid1(SALU_CYCLE_1)
	s_sub_co_i32 s9, s3, s9
	s_mul_hi_u32 s3, s9, s30
	s_delay_alu instid0(SALU_CYCLE_1) | instskip(NEXT) | instid1(SALU_CYCLE_1)
	s_add_co_i32 s3, s9, s3
	s_lshr_b32 s24, s3, s31
	s_mov_b32 s3, s21
	s_wait_kmcnt 0x0
	s_mul_i32 s2, s24, s2
	s_lshl_b32 s21, s24, 3
	s_sub_co_i32 s2, s9, s2
	s_delay_alu instid0(SALU_CYCLE_1) | instskip(SKIP_2) | instid1(SALU_CYCLE_1)
	s_mul_u64 s[10:11], s[2:3], s[22:23]
	s_lshr_b32 s3, ttmp7, 16
	s_add_co_i32 s2, s2, s11
	s_lshr_b32 s15, s2, s13
	s_and_b32 s2, ttmp7, 0xffff
	s_lshl_b32 s9, s15, 1
	s_delay_alu instid0(SALU_CYCLE_1) | instskip(NEXT) | instid1(SALU_CYCLE_1)
	s_add_co_i32 s9, s9, s2
	s_cmp_lt_i32 s9, s4
	s_cselect_b32 s9, -1, 0
	s_add_co_i32 s10, s21, s3
	s_delay_alu instid0(SALU_CYCLE_1) | instskip(SKIP_1) | instid1(SALU_CYCLE_1)
	s_cmp_lt_i32 s10, s6
	s_cselect_b32 s10, -1, 0
	s_and_b32 s9, s9, s10
	s_delay_alu instid0(SALU_CYCLE_1)
	s_and_not1_b32 vcc_lo, exec_lo, s9
	s_cbranch_vccnz .LBB15_24
; %bb.8:
	s_mul_i32 s4, s7, s4
	s_mul_i32 s6, s8, s6
	s_add_co_i32 s4, s4, s2
	s_load_b128 s[8:11], s[0:1], 0x0
	s_mul_i32 s4, s4, s5
	s_mul_i32 s1, s5, s15
	s_add_co_i32 s4, s4, s3
	s_lshl_b32 s1, s1, 8
	s_add_co_i32 s0, s4, s6
	s_lshl_b32 s15, s2, 3
	s_add_co_i32 s0, s0, s21
	s_add_co_i32 s15, s15, s3
	s_lshl_b32 s0, s0, 7
	v_cvt_f32_u32_e32 v4, s16
	s_add_co_i32 s1, s1, s0
	s_add_co_i32 s34, ttmp9, -1
	v_or_b32_e32 v1, s1, v0
	s_add_nc_u64 s[0:1], s[16:17], 0
	v_rcp_iflag_f32_e32 v4, v4
	s_wait_alu 0xfffe
	s_xor_b64 s[6:7], s[0:1], 0
	s_lshl_b32 s0, ttmp9, 4
	v_ashrrev_i32_e32 v2, 31, v1
	s_wait_alu 0xfffe
	s_cvt_f32_u32 s1, s6
	s_cvt_f32_u32 s2, s7
	s_add_co_i32 s0, s15, s0
	v_lshl_or_b32 v0, s15, 7, v0
	v_lshlrev_b64_e32 v[1:2], 2, v[1:2]
	s_wait_alu 0xfffe
	s_fmamk_f32 s2, s2, 0x4f800000, s1
	s_ashr_i32 s1, s0, 31
	s_sub_nc_u64 s[30:31], 0, s[6:7]
	s_wait_alu 0xfffe
	s_lshl_b64 s[0:1], s[0:1], 3
	v_s_rcp_f32 s2, s2
	s_wait_kmcnt 0x0
	v_add_co_u32 v1, vcc_lo, s8, v1
	s_delay_alu instid0(VALU_DEP_1)
	v_add_co_ci_u32_e64 v2, null, s9, v2, vcc_lo
	s_wait_alu 0xfffe
	s_add_nc_u64 s[0:1], s[10:11], s[0:1]
	s_mov_b32 s8, 0
	s_load_b64 s[26:27], s[0:1], 0x0
	global_load_b32 v3, v[1:2], off
	s_mul_f32 s2, s2, 0x5f7ffffc
	v_mul_f32_e32 v4, 0x4f7ffffe, v4
	s_lshl_b32 s0, s16, 6
	s_wait_alu 0xfffe
	s_mul_f32 s1, s2, 0x2f800000
	s_wait_alu 0xfffe
	s_delay_alu instid0(SALU_CYCLE_2)
	s_trunc_f32 s3, s1
	s_mov_b32 s1, s8
	s_wait_alu 0xfffe
	s_lshl_b64 s[0:1], s[0:1], 2
	s_fmamk_f32 s2, s3, 0xcf800000, s2
	s_cvt_u32_f32 s29, s3
	s_wait_alu 0xfffe
	s_add_nc_u64 s[24:25], s[10:11], s[0:1]
	s_cvt_u32_f32 s28, s2
	s_wait_kmcnt 0x0
	v_mov_b32_e32 v5, s27
	v_cvt_u32_f32_e32 v4, v4
.LBB15_9:                               ; =>This Inner Loop Header: Depth=1
	s_wait_alu 0xfffe
	s_ashr_i32 s35, s34, 31
	s_mov_b32 s2, -1
	s_wait_alu 0xfffe
	s_mul_u64 s[0:1], s[34:35], s[18:19]
                                        ; implicit-def: $sgpr38_sgpr39
	s_wait_alu 0xfffe
	s_mov_b32 s9, s1
	s_wait_alu 0xfffe
	s_cmp_lg_u64 s[8:9], 0
	s_cbranch_scc0 .LBB15_11
; %bb.10:                               ;   in Loop: Header=BB15_9 Depth=1
	s_mul_u64 s[2:3], s[30:31], s[28:29]
	s_mov_b32 s37, s8
	s_wait_alu 0xfffe
	s_mul_hi_u32 s5, s28, s3
	s_mul_i32 s4, s28, s3
	s_mul_hi_u32 s36, s28, s2
	s_mul_hi_u32 s9, s29, s2
	s_wait_alu 0xfffe
	s_add_nc_u64 s[4:5], s[36:37], s[4:5]
	s_mul_i32 s2, s29, s2
	s_mul_hi_u32 s17, s29, s3
	s_wait_alu 0xfffe
	s_add_co_u32 s2, s4, s2
	s_add_co_ci_u32 s2, s5, s9
	s_add_co_ci_u32 s5, s17, 0
	s_mul_i32 s4, s29, s3
	s_mov_b32 s3, s8
	s_mov_b32 s39, s8
	s_wait_alu 0xfffe
	s_add_nc_u64 s[2:3], s[2:3], s[4:5]
	s_wait_alu 0xfffe
	s_add_co_u32 s2, s28, s2
	s_cselect_b32 s4, -1, 0
	s_wait_alu 0xfffe
	s_cmp_lg_u32 s4, 0
	s_add_co_ci_u32 s3, s29, s3
	s_wait_alu 0xfffe
	s_mul_u64 s[4:5], s[30:31], s[2:3]
	s_wait_alu 0xfffe
	s_mul_hi_u32 s37, s2, s5
	s_mul_i32 s36, s2, s5
	s_mul_hi_u32 s38, s2, s4
	s_mul_hi_u32 s9, s3, s4
	s_mul_i32 s4, s3, s4
	s_wait_alu 0xfffe
	s_add_nc_u64 s[36:37], s[38:39], s[36:37]
	s_mul_hi_u32 s17, s3, s5
	s_wait_alu 0xfffe
	s_add_co_u32 s4, s36, s4
	s_add_co_ci_u32 s4, s37, s9
	s_add_co_ci_u32 s37, s17, 0
	s_mul_i32 s36, s3, s5
	s_mov_b32 s5, s8
	s_wait_alu 0xfffe
	s_add_nc_u64 s[4:5], s[4:5], s[36:37]
	s_mov_b32 s37, s8
	s_wait_alu 0xfffe
	s_add_co_u32 s9, s2, s4
	s_cselect_b32 s2, -1, 0
	s_wait_alu 0xfffe
	s_cmp_lg_u32 s2, 0
	s_add_co_ci_u32 s17, s3, s5
	s_ashr_i32 s2, s1, 31
	s_wait_alu 0xfffe
	s_mov_b32 s3, s2
	s_wait_alu 0xfffe
	s_add_nc_u64 s[4:5], s[0:1], s[2:3]
	s_wait_alu 0xfffe
	s_xor_b64 s[4:5], s[4:5], s[2:3]
	s_wait_alu 0xfffe
	s_mul_hi_u32 s39, s4, s17
	s_mul_i32 s38, s4, s17
	s_mul_hi_u32 s36, s4, s9
	s_mul_i32 s21, s5, s9
	s_wait_alu 0xfffe
	s_add_nc_u64 s[36:37], s[36:37], s[38:39]
	s_mul_hi_u32 s9, s5, s9
	s_mul_hi_u32 s1, s5, s17
	s_wait_alu 0xfffe
	s_add_co_u32 s21, s36, s21
	s_add_co_ci_u32 s36, s37, s9
	s_add_co_ci_u32 s39, s1, 0
	s_mul_i32 s38, s5, s17
	s_mov_b32 s37, s8
	s_wait_alu 0xfffe
	s_add_nc_u64 s[36:37], s[36:37], s[38:39]
	s_wait_alu 0xfffe
	s_mul_u64 s[38:39], s[6:7], s[36:37]
	s_add_nc_u64 s[40:41], s[36:37], 1
	s_sub_co_u32 s1, s4, s38
	s_cselect_b32 s4, -1, 0
	s_sub_co_i32 s9, s5, s39
	s_wait_alu 0xfffe
	s_cmp_lg_u32 s4, 0
	s_add_nc_u64 s[42:43], s[36:37], 2
	s_sub_co_ci_u32 s9, s9, s7
	s_sub_co_u32 s17, s1, s6
	s_cselect_b32 s21, -1, 0
	s_delay_alu instid0(SALU_CYCLE_1)
	s_cmp_lg_u32 s21, 0
	s_wait_alu 0xfffe
	s_sub_co_ci_u32 s9, s9, 0
	s_wait_alu 0xfffe
	s_cmp_ge_u32 s9, s7
	s_cselect_b32 s21, -1, 0
	s_cmp_ge_u32 s17, s6
	s_cselect_b32 s17, -1, 0
	s_cmp_eq_u32 s9, s7
	s_wait_alu 0xfffe
	s_cselect_b32 s9, s17, s21
	s_wait_alu 0xfffe
	s_cmp_lg_u32 s9, 0
	s_cselect_b32 s9, s42, s40
	s_cselect_b32 s17, s43, s41
	s_cmp_lg_u32 s4, 0
	s_sub_co_ci_u32 s4, s5, s39
	s_wait_alu 0xfffe
	s_cmp_ge_u32 s4, s7
	s_cselect_b32 s5, -1, 0
	s_cmp_ge_u32 s1, s6
	s_cselect_b32 s1, -1, 0
	s_cmp_eq_u32 s4, s7
	s_wait_alu 0xfffe
	s_cselect_b32 s1, s1, s5
	s_wait_alu 0xfffe
	s_cmp_lg_u32 s1, 0
	s_cselect_b32 s5, s17, s37
	s_cselect_b32 s4, s9, s36
	s_xor_b64 s[2:3], s[2:3], 0
	s_wait_alu 0xfffe
	s_xor_b64 s[4:5], s[4:5], s[2:3]
	s_wait_alu 0xfffe
	s_sub_nc_u64 s[38:39], s[4:5], s[2:3]
	s_mov_b32 s2, 0
.LBB15_11:                              ;   in Loop: Header=BB15_9 Depth=1
	s_wait_alu 0xfffe
	s_and_not1_b32 vcc_lo, exec_lo, s2
	s_wait_alu 0xfffe
	s_cbranch_vccnz .LBB15_13
; %bb.12:                               ;   in Loop: Header=BB15_9 Depth=1
	v_readfirstlane_b32 s1, v4
	s_sub_co_i32 s2, 0, s16
	s_wait_alu 0xfffe
	s_mul_i32 s2, s2, s1
	s_wait_alu 0xfffe
	s_mul_hi_u32 s2, s1, s2
	s_wait_alu 0xfffe
	s_add_co_i32 s1, s1, s2
	s_wait_alu 0xfffe
	s_mul_hi_u32 s1, s0, s1
	s_wait_alu 0xfffe
	s_mul_i32 s2, s1, s16
	s_wait_alu 0xfffe
	s_sub_co_i32 s0, s0, s2
	s_add_co_i32 s2, s1, 1
	s_wait_alu 0xfffe
	s_sub_co_i32 s3, s0, s16
	s_cmp_ge_u32 s0, s16
	s_cselect_b32 s1, s2, s1
	s_wait_alu 0xfffe
	s_cselect_b32 s0, s3, s0
	s_add_co_i32 s2, s1, 1
	s_wait_alu 0xfffe
	s_cmp_ge_u32 s0, s16
	s_cselect_b32 s38, s2, s1
.LBB15_13:                              ;   in Loop: Header=BB15_9 Depth=1
	v_readfirstlane_b32 s9, v0
	s_cmp_lg_u32 s20, s38
	s_mov_b32 s0, -1
                                        ; implicit-def: $sgpr21
                                        ; implicit-def: $vgpr6
                                        ; implicit-def: $vgpr7
                                        ; implicit-def: $sgpr17
                                        ; implicit-def: $sgpr27
	s_cbranch_scc1 .LBB15_16
; %bb.14:                               ;   in Loop: Header=BB15_9 Depth=1
	s_wait_alu 0xfffe
	s_and_not1_b32 vcc_lo, exec_lo, s0
	s_wait_alu 0xfffe
	s_cbranch_vccz .LBB15_19
.LBB15_15:                              ;   in Loop: Header=BB15_9 Depth=1
	s_and_not1_b32 vcc_lo, exec_lo, s21
	s_wait_alu 0xfffe
	s_cbranch_vccnz .LBB15_20
	s_branch .LBB15_23
.LBB15_16:                              ;   in Loop: Header=BB15_9 Depth=1
	s_add_co_i32 s0, s34, s16
	s_mov_b32 s1, s8
	s_wait_alu 0xfffe
	s_lshl_b32 s0, s0, 4
	v_max_num_f32_e64 v6, s26, s26
	s_wait_alu 0xfffe
	s_add_co_i32 s0, s0, s15
	s_mov_b32 s39, s8
	s_wait_alu 0xfffe
	s_lshl_b64 s[0:1], s[0:1], 3
	s_mul_u64 s[40:41], s[38:39], s[22:23]
	s_wait_alu 0xfffe
	s_add_nc_u64 s[0:1], s[10:11], s[0:1]
	s_mov_b32 s27, s20
	s_load_b64 s[36:37], s[0:1], 0x0
	v_readfirstlane_b32 s0, v6
	s_wait_kmcnt 0x0
	v_max_num_f32_e64 v7, s36, s36
	s_delay_alu instid0(VALU_DEP_1) | instskip(SKIP_2) | instid1(SALU_CYCLE_2)
	v_readfirstlane_b32 s1, v7
	s_max_num_f32 s9, s0, s1
	s_wait_alu 0xfffe
	s_sub_f32 s33, s26, s9
	s_sub_f32 s35, s36, s9
	s_wait_alu 0xfffe
	s_delay_alu instid0(SALU_CYCLE_1)
	s_cmp_nlt_f32 s33, 0xc2ce8ed0
	s_cselect_b32 s0, -1, 0
	s_cmp_ngt_f32 s33, 0x42b17218
	s_cselect_b32 s1, -1, 0
	s_cmp_ge_f32 s33, 0xc1a00000
	s_cselect_b32 s2, -1, 0
	s_cmp_nlt_f32 s35, 0xc2ce8ed0
	s_cselect_b32 s3, -1, 0
	s_cmp_ngt_f32 s35, 0x42b17218
	s_cselect_b32 s4, -1, 0
	s_cmp_ge_f32 s35, 0xc1a00000
	s_cselect_b32 s5, -1, 0
	s_add_co_i32 s17, s41, s38
	s_wait_alu 0xfffe
	s_lshr_b32 s17, s17, s13
	s_wait_alu 0xfffe
	s_mul_i32 s21, s17, s14
	s_delay_alu instid0(SALU_CYCLE_1)
	s_cmp_eq_u32 s21, s38
	s_cselect_b32 s21, -1, 0
	s_cmp_lt_u32 s17, s12
	s_cselect_b32 s17, -1, 0
	s_wait_alu 0xfffe
	s_or_b32 s17, s17, s21
	s_mov_b32 s21, -1
	s_wait_alu 0xfffe
	s_and_b32 vcc_lo, exec_lo, s17
	s_mov_b32 s17, s34
	s_wait_alu 0xfffe
	s_cbranch_vccnz .LBB15_18
; %bb.17:                               ;   in Loop: Header=BB15_9 Depth=1
	s_add_co_i32 s17, s34, -1
	s_mov_b32 s21, 0
	s_mov_b32 s27, s38
.LBB15_18:                              ;   in Loop: Header=BB15_9 Depth=1
	v_lshl_add_u32 v6, s34, 11, v0
	s_mul_f32 s36, s35, 0x3fb8aa3b
	s_mul_f32 s38, s33, 0x3fb8aa3b
	s_wait_alu 0xfffe
	s_delay_alu instid0(SALU_CYCLE_1)
	s_xor_b32 s39, s36, 0x80000000
	v_ashrrev_i32_e32 v7, 31, v6
	s_rndne_f32 s40, s36
	s_fmamk_f32 s39, s35, 0x3fb8aa3b, s39
	s_xor_b32 s41, s38, 0x80000000
	s_rndne_f32 s42, s38
	v_lshlrev_b64_e32 v[6:7], 2, v[6:7]
	s_sub_f32 s36, s36, s40
	s_fmamk_f32 s35, s35, 0x32a5705f, s39
	s_fmamk_f32 s39, s33, 0x3fb8aa3b, s41
	s_sub_f32 s38, s38, s42
	s_delay_alu instid0(VALU_DEP_1)
	v_add_co_u32 v6, vcc_lo, s24, v6
	s_wait_alu 0xfffd
	v_add_co_ci_u32_e64 v7, null, s25, v7, vcc_lo
	s_wait_alu 0xfffe
	s_add_f32 s35, s36, s35
	s_fmamk_f32 s33, s33, 0x32a5705f, s39
	s_cvt_i32_f32 s36, s40
	global_load_b32 v6, v[6:7], off
	s_wait_alu 0xfffe
	v_s_exp_f32 s35, s35
	s_add_f32 s33, s38, s33
	s_wait_alu 0xfffe
	s_delay_alu instid0(SALU_CYCLE_2) | instskip(NEXT) | instid1(TRANS32_DEP_2)
	v_s_exp_f32 s33, s33
	v_ldexp_f32 v7, s35, s36
	s_cvt_i32_f32 s35, s42
	s_wait_alu 0xf1fe
	s_delay_alu instid0(TRANS32_DEP_1) | instid1(SALU_CYCLE_2)
	v_ldexp_f32 v8, s33, s35
	s_delay_alu instid0(VALU_DEP_2) | instskip(NEXT) | instid1(VALU_DEP_2)
	v_cndmask_b32_e64 v7, 0, v7, s3
	v_cndmask_b32_e64 v8, 0, v8, s0
	s_delay_alu instid0(VALU_DEP_2) | instskip(NEXT) | instid1(VALU_DEP_2)
	v_cndmask_b32_e64 v7, 0x7f800000, v7, s4
	v_cndmask_b32_e64 v8, 0x7f800000, v8, s1
	;; [unrolled: 3-line block ×3, first 2 shown]
	s_wait_loadcnt 0x0
	s_delay_alu instid0(VALU_DEP_2) | instskip(SKIP_1) | instid1(VALU_DEP_1)
	v_mul_f32_e32 v6, v6, v7
	v_mul_f32_e32 v7, s37, v7
	v_fmac_f32_e32 v7, v5, v8
	s_delay_alu instid0(VALU_DEP_3)
	v_fmac_f32_e32 v6, v3, v8
	s_cbranch_execnz .LBB15_15
.LBB15_19:                              ;   in Loop: Header=BB15_9 Depth=1
	s_wait_loadcnt 0x0
	v_dual_mov_b32 v7, v5 :: v_dual_mov_b32 v6, v3
	s_add_co_i32 s17, s34, -1
	s_mov_b32 s27, s20
	s_mov_b32 s9, s26
	s_cbranch_execz .LBB15_23
.LBB15_20:                              ;   in Loop: Header=BB15_9 Depth=1
	v_mov_b32_e32 v5, v7
	s_wait_loadcnt 0x0
	v_mov_b32_e32 v3, v6
	s_wait_alu 0xfffe
	s_mov_b32 s20, s27
	s_mov_b32 s34, s17
	;; [unrolled: 1-line block ×3, first 2 shown]
	s_branch .LBB15_9
.LBB15_21:
                                        ; implicit-def: $sgpr20_sgpr21
	s_branch .LBB15_2
.LBB15_22:
                                        ; implicit-def: $sgpr10_sgpr11
	s_load_b96 s[12:14], s[0:1], 0x44
	s_branch .LBB15_5
.LBB15_23:
	v_div_scale_f32 v0, null, v7, v7, v6
	s_wait_loadcnt 0x0
	s_delay_alu instid0(VALU_DEP_1) | instskip(NEXT) | instid1(TRANS32_DEP_1)
	v_rcp_f32_e32 v3, v0
	v_fma_f32 v4, -v0, v3, 1.0
	s_delay_alu instid0(VALU_DEP_1) | instskip(SKIP_1) | instid1(VALU_DEP_1)
	v_fmac_f32_e32 v3, v4, v3
	v_div_scale_f32 v4, vcc_lo, v6, v7, v6
	v_mul_f32_e32 v5, v4, v3
	s_delay_alu instid0(VALU_DEP_1) | instskip(NEXT) | instid1(VALU_DEP_1)
	v_fma_f32 v8, -v0, v5, v4
	v_fmac_f32_e32 v5, v8, v3
	s_delay_alu instid0(VALU_DEP_1) | instskip(SKIP_1) | instid1(VALU_DEP_1)
	v_fma_f32 v0, -v0, v5, v4
	s_wait_alu 0xfffd
	v_div_fmas_f32 v0, v0, v3, v5
	s_delay_alu instid0(VALU_DEP_1)
	v_div_fixup_f32 v0, v0, v7, v6
	global_store_b32 v[1:2], v0, off
.LBB15_24:
	s_endpgm
	.section	.rodata,"a",@progbits
	.p2align	6, 0x0
	.amdhsa_kernel _ZL33flash_attn_stream_k_fixup_generalILi128ELi2ELi8EEvPfPK15HIP_vector_typeIfLj2EEiiiiS1_IjLj3EES5_S5_S5_
		.amdhsa_group_segment_fixed_size 0
		.amdhsa_private_segment_fixed_size 0
		.amdhsa_kernarg_size 336
		.amdhsa_user_sgpr_count 2
		.amdhsa_user_sgpr_dispatch_ptr 0
		.amdhsa_user_sgpr_queue_ptr 0
		.amdhsa_user_sgpr_kernarg_segment_ptr 1
		.amdhsa_user_sgpr_dispatch_id 0
		.amdhsa_user_sgpr_private_segment_size 0
		.amdhsa_wavefront_size32 1
		.amdhsa_uses_dynamic_stack 0
		.amdhsa_enable_private_segment 0
		.amdhsa_system_sgpr_workgroup_id_x 1
		.amdhsa_system_sgpr_workgroup_id_y 1
		.amdhsa_system_sgpr_workgroup_id_z 1
		.amdhsa_system_sgpr_workgroup_info 0
		.amdhsa_system_vgpr_workitem_id 0
		.amdhsa_next_free_vgpr 9
		.amdhsa_next_free_sgpr 44
		.amdhsa_reserve_vcc 1
		.amdhsa_float_round_mode_32 0
		.amdhsa_float_round_mode_16_64 0
		.amdhsa_float_denorm_mode_32 3
		.amdhsa_float_denorm_mode_16_64 3
		.amdhsa_fp16_overflow 0
		.amdhsa_workgroup_processor_mode 1
		.amdhsa_memory_ordered 1
		.amdhsa_forward_progress 1
		.amdhsa_inst_pref_size 28
		.amdhsa_round_robin_scheduling 0
		.amdhsa_exception_fp_ieee_invalid_op 0
		.amdhsa_exception_fp_denorm_src 0
		.amdhsa_exception_fp_ieee_div_zero 0
		.amdhsa_exception_fp_ieee_overflow 0
		.amdhsa_exception_fp_ieee_underflow 0
		.amdhsa_exception_fp_ieee_inexact 0
		.amdhsa_exception_int_div_zero 0
	.end_amdhsa_kernel
	.section	.text._ZL33flash_attn_stream_k_fixup_generalILi128ELi2ELi8EEvPfPK15HIP_vector_typeIfLj2EEiiiiS1_IjLj3EES5_S5_S5_,"axG",@progbits,_ZL33flash_attn_stream_k_fixup_generalILi128ELi2ELi8EEvPfPK15HIP_vector_typeIfLj2EEiiiiS1_IjLj3EES5_S5_S5_,comdat
.Lfunc_end15:
	.size	_ZL33flash_attn_stream_k_fixup_generalILi128ELi2ELi8EEvPfPK15HIP_vector_typeIfLj2EEiiiiS1_IjLj3EES5_S5_S5_, .Lfunc_end15-_ZL33flash_attn_stream_k_fixup_generalILi128ELi2ELi8EEvPfPK15HIP_vector_typeIfLj2EEiiiiS1_IjLj3EES5_S5_S5_
                                        ; -- End function
	.set _ZL33flash_attn_stream_k_fixup_generalILi128ELi2ELi8EEvPfPK15HIP_vector_typeIfLj2EEiiiiS1_IjLj3EES5_S5_S5_.num_vgpr, 9
	.set _ZL33flash_attn_stream_k_fixup_generalILi128ELi2ELi8EEvPfPK15HIP_vector_typeIfLj2EEiiiiS1_IjLj3EES5_S5_S5_.num_agpr, 0
	.set _ZL33flash_attn_stream_k_fixup_generalILi128ELi2ELi8EEvPfPK15HIP_vector_typeIfLj2EEiiiiS1_IjLj3EES5_S5_S5_.numbered_sgpr, 44
	.set _ZL33flash_attn_stream_k_fixup_generalILi128ELi2ELi8EEvPfPK15HIP_vector_typeIfLj2EEiiiiS1_IjLj3EES5_S5_S5_.num_named_barrier, 0
	.set _ZL33flash_attn_stream_k_fixup_generalILi128ELi2ELi8EEvPfPK15HIP_vector_typeIfLj2EEiiiiS1_IjLj3EES5_S5_S5_.private_seg_size, 0
	.set _ZL33flash_attn_stream_k_fixup_generalILi128ELi2ELi8EEvPfPK15HIP_vector_typeIfLj2EEiiiiS1_IjLj3EES5_S5_S5_.uses_vcc, 1
	.set _ZL33flash_attn_stream_k_fixup_generalILi128ELi2ELi8EEvPfPK15HIP_vector_typeIfLj2EEiiiiS1_IjLj3EES5_S5_S5_.uses_flat_scratch, 0
	.set _ZL33flash_attn_stream_k_fixup_generalILi128ELi2ELi8EEvPfPK15HIP_vector_typeIfLj2EEiiiiS1_IjLj3EES5_S5_S5_.has_dyn_sized_stack, 0
	.set _ZL33flash_attn_stream_k_fixup_generalILi128ELi2ELi8EEvPfPK15HIP_vector_typeIfLj2EEiiiiS1_IjLj3EES5_S5_S5_.has_recursion, 0
	.set _ZL33flash_attn_stream_k_fixup_generalILi128ELi2ELi8EEvPfPK15HIP_vector_typeIfLj2EEiiiiS1_IjLj3EES5_S5_S5_.has_indirect_call, 0
	.section	.AMDGPU.csdata,"",@progbits
; Kernel info:
; codeLenInByte = 3548
; TotalNumSgprs: 46
; NumVgprs: 9
; ScratchSize: 0
; MemoryBound: 0
; FloatMode: 240
; IeeeMode: 1
; LDSByteSize: 0 bytes/workgroup (compile time only)
; SGPRBlocks: 0
; VGPRBlocks: 1
; NumSGPRsForWavesPerEU: 46
; NumVGPRsForWavesPerEU: 9
; Occupancy: 16
; WaveLimiterHint : 0
; COMPUTE_PGM_RSRC2:SCRATCH_EN: 0
; COMPUTE_PGM_RSRC2:USER_SGPR: 2
; COMPUTE_PGM_RSRC2:TRAP_HANDLER: 0
; COMPUTE_PGM_RSRC2:TGID_X_EN: 1
; COMPUTE_PGM_RSRC2:TGID_Y_EN: 1
; COMPUTE_PGM_RSRC2:TGID_Z_EN: 1
; COMPUTE_PGM_RSRC2:TIDIG_COMP_CNT: 0
	.section	.text._ZL15flash_attn_tileILi192ELi128ELi1ELi8ELb0EEvPKcS1_S1_S1_S1_PKiPfP15HIP_vector_typeIfLj2EEffffjfiS5_IjLj3EEiiiiiiiiiiiliiliiiiil,"axG",@progbits,_ZL15flash_attn_tileILi192ELi128ELi1ELi8ELb0EEvPKcS1_S1_S1_S1_PKiPfP15HIP_vector_typeIfLj2EEffffjfiS5_IjLj3EEiiiiiiiiiiiliiliiiiil,comdat
	.globl	_ZL15flash_attn_tileILi192ELi128ELi1ELi8ELb0EEvPKcS1_S1_S1_S1_PKiPfP15HIP_vector_typeIfLj2EEffffjfiS5_IjLj3EEiiiiiiiiiiiliiliiiiil ; -- Begin function _ZL15flash_attn_tileILi192ELi128ELi1ELi8ELb0EEvPKcS1_S1_S1_S1_PKiPfP15HIP_vector_typeIfLj2EEffffjfiS5_IjLj3EEiiiiiiiiiiiliiliiiiil
	.p2align	8
	.type	_ZL15flash_attn_tileILi192ELi128ELi1ELi8ELb0EEvPKcS1_S1_S1_S1_PKiPfP15HIP_vector_typeIfLj2EEffffjfiS5_IjLj3EEiiiiiiiiiiiliiliiiiil,@function
_ZL15flash_attn_tileILi192ELi128ELi1ELi8ELb0EEvPKcS1_S1_S1_S1_PKiPfP15HIP_vector_typeIfLj2EEffffjfiS5_IjLj3EEiiiiiiiiiiiliiliiiiil: ; @_ZL15flash_attn_tileILi192ELi128ELi1ELi8ELb0EEvPKcS1_S1_S1_S1_PKiPfP15HIP_vector_typeIfLj2EEffffjfiS5_IjLj3EEiiiiiiiiiiiliiliiiiil
; %bb.0:
	s_clause 0x1
	s_load_b128 s[20:23], s[0:1], 0x5c
	s_load_b64 s[30:31], s[0:1], 0x80
	s_lshr_b32 s5, ttmp7, 16
	s_load_b64 s[36:37], s[0:1], 0xb8
	s_mov_b64 s[34:35], 0
	s_wait_kmcnt 0x0
	s_ashr_i32 s2, s23, 31
	s_delay_alu instid0(SALU_CYCLE_1) | instskip(NEXT) | instid1(SALU_CYCLE_1)
	s_lshr_b32 s2, s2, 29
	s_add_co_i32 s2, s23, s2
	s_delay_alu instid0(SALU_CYCLE_1) | instskip(NEXT) | instid1(SALU_CYCLE_1)
	s_ashr_i32 s2, s2, 3
	s_cvt_f32_u32 s3, s2
	s_sub_co_i32 s4, 0, s2
	s_delay_alu instid0(SALU_CYCLE_2) | instskip(NEXT) | instid1(TRANS32_DEP_1)
	v_rcp_iflag_f32_e32 v1, s3
	v_readfirstlane_b32 s3, v1
	s_mul_f32 s3, s3, 0x4f7ffffe
	s_wait_alu 0xfffe
	s_delay_alu instid0(SALU_CYCLE_2) | instskip(SKIP_1) | instid1(SALU_CYCLE_2)
	s_cvt_u32_f32 s3, s3
	s_wait_alu 0xfffe
	s_mul_i32 s4, s4, s3
	s_delay_alu instid0(SALU_CYCLE_1) | instskip(NEXT) | instid1(SALU_CYCLE_1)
	s_mul_hi_u32 s4, s3, s4
	s_add_co_i32 s3, s3, s4
	s_wait_alu 0xfffe
	s_mul_hi_u32 s3, s5, s3
	s_wait_alu 0xfffe
	s_mul_i32 s4, s3, s2
	s_add_co_i32 s6, s3, 1
	s_sub_co_i32 s4, s5, s4
	s_delay_alu instid0(SALU_CYCLE_1)
	s_sub_co_i32 s7, s4, s2
	s_cmp_ge_u32 s4, s2
	s_cselect_b32 s3, s6, s3
	s_cselect_b32 s4, s7, s4
	s_wait_alu 0xfffe
	s_add_co_i32 s6, s3, 1
	s_cmp_ge_u32 s4, s2
	s_cselect_b32 s28, s6, s3
	s_abs_i32 s2, s31
	s_abs_i32 s7, s23
	s_wait_alu 0xfffe
	s_cvt_f32_u32 s3, s2
	s_sub_co_i32 s4, 0, s2
	s_lshl_b32 s5, s5, 3
	s_mul_i32 s6, s28, s23
	s_wait_alu 0xfffe
	v_rcp_iflag_f32_e32 v1, s3
	s_sub_co_i32 s33, s5, s6
	s_delay_alu instid0(TRANS32_DEP_1) | instskip(SKIP_2) | instid1(SALU_CYCLE_2)
	v_readfirstlane_b32 s3, v1
	s_mul_f32 s3, s3, 0x4f7ffffe
	s_wait_alu 0xfffe
	s_cvt_u32_f32 s3, s3
	s_wait_alu 0xfffe
	s_delay_alu instid0(SALU_CYCLE_2) | instskip(NEXT) | instid1(SALU_CYCLE_1)
	s_mul_i32 s4, s4, s3
	s_mul_hi_u32 s4, s3, s4
	s_delay_alu instid0(SALU_CYCLE_1)
	s_add_co_i32 s3, s3, s4
	s_xor_b32 s4, s23, s31
	s_wait_alu 0xfffe
	s_mul_hi_u32 s3, s7, s3
	s_ashr_i32 s24, s4, 31
	s_wait_alu 0xfffe
	s_mul_i32 s5, s3, s2
	s_delay_alu instid0(SALU_CYCLE_1)
	s_sub_co_i32 s4, s7, s5
	s_add_co_i32 s5, s3, 1
	s_sub_co_i32 s6, s4, s2
	s_cmp_ge_u32 s4, s2
	s_cselect_b32 s3, s5, s3
	s_cselect_b32 s4, s6, s4
	s_wait_alu 0xfffe
	s_add_co_i32 s5, s3, 1
	s_cmp_ge_u32 s4, s2
	s_cselect_b32 s2, s5, s3
	s_load_b512 s[4:19], s[0:1], 0x0
	s_xor_b32 s2, s2, s24
	s_mov_b32 s3, 0
	s_wait_alu 0xfffe
	s_sub_co_i32 s38, s2, s24
	s_delay_alu instid0(SALU_CYCLE_1) | instskip(NEXT) | instid1(SALU_CYCLE_1)
	s_abs_i32 s31, s38
	s_cvt_f32_u32 s2, s31
	s_wait_alu 0xfffe
	s_delay_alu instid0(SALU_CYCLE_2) | instskip(SKIP_2) | instid1(TRANS32_DEP_1)
	v_rcp_iflag_f32_e32 v1, s2
	s_wait_kmcnt 0x0
	s_cmp_eq_u64 s[10:11], 0
	v_readfirstlane_b32 s24, v1
	s_cbranch_scc1 .LBB16_2
; %bb.1:
	s_abs_i32 s2, s36
	s_wait_alu 0xfffe
	s_cvt_f32_u32 s25, s2
	s_sub_co_i32 s26, 0, s2
	s_delay_alu instid0(SALU_CYCLE_2) | instskip(NEXT) | instid1(TRANS32_DEP_1)
	v_rcp_iflag_f32_e32 v1, s25
	v_readfirstlane_b32 s25, v1
	s_mul_f32 s25, s25, 0x4f7ffffe
	s_wait_alu 0xfffe
	s_delay_alu instid0(SALU_CYCLE_2) | instskip(SKIP_1) | instid1(SALU_CYCLE_2)
	s_cvt_u32_f32 s25, s25
	s_wait_alu 0xfffe
	s_mul_i32 s26, s26, s25
	s_delay_alu instid0(SALU_CYCLE_1)
	s_mul_hi_u32 s29, s25, s26
	s_load_b64 s[26:27], s[0:1], 0xc8
	s_add_co_i32 s25, s25, s29
	s_wait_alu 0xfffe
	s_mul_hi_u32 s25, s28, s25
	s_wait_alu 0xfffe
	s_mul_i32 s25, s25, s2
	s_wait_alu 0xfffe
	s_sub_co_i32 s25, s28, s25
	s_wait_alu 0xfffe
	s_sub_co_i32 s29, s25, s2
	s_cmp_ge_u32 s25, s2
	s_cselect_b32 s25, s29, s25
	s_wait_alu 0xfffe
	s_sub_co_i32 s29, s25, s2
	s_cmp_ge_u32 s25, s2
	s_cselect_b32 s34, s29, s25
	s_delay_alu instid0(SALU_CYCLE_1) | instskip(SKIP_2) | instid1(SALU_CYCLE_1)
	s_ashr_i32 s35, s34, 31
	s_wait_kmcnt 0x0
	s_mul_u64 s[26:27], s[26:27], s[34:35]
	s_add_nc_u64 s[34:35], s[10:11], s[26:27]
.LBB16_2:
	v_lshrrev_b32_e32 v1, 10, v0
	s_load_b96 s[40:42], s[0:1], 0x70
	v_bfe_u32 v6, v0, 10, 10
	v_and_b32_e32 v0, 0x3ff, v0
	s_delay_alu instid0(VALU_DEP_3) | instskip(NEXT) | instid1(VALU_DEP_3)
	v_bfe_u32 v1, v1, 2, 8
	v_lshlrev_b32_e32 v5, 1, v6
	s_delay_alu instid0(VALU_DEP_2) | instskip(NEXT) | instid1(VALU_DEP_1)
	v_add_nc_u32_e32 v1, ttmp9, v1
	v_mul_hi_u32 v2, s20, v1
	s_wait_kmcnt 0x0
	s_mul_i32 s20, s33, s41
	s_ashr_i32 s27, s41, 31
	s_delay_alu instid0(VALU_DEP_1) | instskip(SKIP_2) | instid1(SALU_CYCLE_1)
	v_add_nc_u32_e32 v2, v1, v2
	s_mov_b32 s26, s41
	s_ashr_i32 s41, s40, 31
	s_lshr_b64 s[10:11], s[40:41], 2
	s_delay_alu instid0(VALU_DEP_1) | instskip(SKIP_3) | instid1(VALU_DEP_1)
	v_lshrrev_b32_e32 v2, s21, v2
	s_lshr_b32 s2, s41, 2
	s_wait_alu 0xfffe
	s_ashr_i32 s21, s20, 31
	v_mul_lo_u32 v2, v2, s22
	s_delay_alu instid0(VALU_DEP_1) | instskip(NEXT) | instid1(VALU_DEP_1)
	v_sub_nc_u32_e32 v4, v1, v2
	v_mad_co_u64_u32 v[2:3], null, s10, v4, 0
	s_lshr_b64 s[10:11], s[26:27], 2
	s_mul_i32 s26, s28, s42
	v_mad_co_u64_u32 v[9:10], null, s2, v4, v[3:4]
	v_and_b32_e32 v14, 6, v5
	s_lshr_b32 s2, s27, 2
	s_ashr_i32 s27, s26, 31
	s_delay_alu instid0(SALU_CYCLE_1) | instskip(SKIP_2) | instid1(VALU_DEP_2)
	s_add_nc_u64 s[4:5], s[4:5], s[26:27]
	s_wait_alu 0xfffe
	s_add_nc_u64 s[4:5], s[4:5], s[20:21]
	v_mov_b32_e32 v3, v9
	v_mad_co_u64_u32 v[7:8], null, s10, v14, 0
	s_delay_alu instid0(VALU_DEP_2) | instskip(NEXT) | instid1(VALU_DEP_2)
	v_lshlrev_b64_e32 v[2:3], 2, v[2:3]
	v_mad_co_u64_u32 v[8:9], null, s2, v14, v[8:9]
	v_lshlrev_b32_e32 v9, 4, v0
	s_delay_alu instid0(VALU_DEP_3) | instskip(NEXT) | instid1(VALU_DEP_1)
	v_add_co_u32 v10, vcc_lo, s4, v2
	v_add_co_ci_u32_e64 v11, null, s5, v3, vcc_lo
	s_load_b32 s4, s[0:1], 0x40
	v_lshlrev_b64_e32 v[2:3], 2, v[7:8]
	v_add_co_u32 v9, vcc_lo, v10, v9
	s_wait_alu 0xfffd
	v_add_co_ci_u32_e64 v10, null, 0, v11, vcc_lo
	s_delay_alu instid0(VALU_DEP_2) | instskip(SKIP_1) | instid1(VALU_DEP_2)
	v_add_co_u32 v2, vcc_lo, v9, v2
	s_wait_alu 0xfffd
	v_add_co_ci_u32_e64 v3, null, v10, v3, vcc_lo
	v_cmp_gt_u32_e32 vcc_lo, 16, v0
	global_load_b128 v[15:18], v[2:3], off
	s_wait_loadcnt 0x0
	s_wait_kmcnt 0x0
	v_fma_mixlo_f16 v7, s4, v16, 0
	v_fma_mixlo_f16 v8, s4, v15, 0
	v_lshlrev_b32_e32 v15, 3, v0
	v_fma_mixlo_f16 v11, s4, v17, 0
	v_fma_mixlo_f16 v12, s4, v18, 0
	v_lshlrev_b32_e32 v7, 16, v7
	v_and_b32_e32 v13, 0xffff, v8
	v_add_nc_u32_e32 v8, 0x1200, v15
	v_and_b32_e32 v11, 0xffff, v11
	v_lshlrev_b32_e32 v12, 16, v12
	s_delay_alu instid0(VALU_DEP_4) | instskip(SKIP_2) | instid1(VALU_DEP_4)
	v_or_b32_e32 v13, v7, v13
	v_mul_u32_u24_e32 v7, 0x300, v6
	v_mad_u32_u24 v16, 0x300, v6, v8
	v_or3_b32 v12, v12, v11, 0
	s_delay_alu instid0(VALU_DEP_4)
	v_or3_b32 v11, 0, 0, v13
	ds_store_b64 v16, v[11:12]
	s_and_saveexec_b32 s2, vcc_lo
	s_cbranch_execz .LBB16_4
; %bb.3:
	global_load_b128 v[16:19], v[2:3], off offset:512
	s_wait_loadcnt 0x0
	v_fma_mixlo_f16 v2, s4, v17, 0
	v_fma_mixlo_f16 v3, s4, v16, 0
	;; [unrolled: 1-line block ×4, first 2 shown]
	s_delay_alu instid0(VALU_DEP_4) | instskip(NEXT) | instid1(VALU_DEP_4)
	v_lshlrev_b32_e32 v2, 16, v2
	v_and_b32_e32 v3, 0xffff, v3
	s_delay_alu instid0(VALU_DEP_4) | instskip(NEXT) | instid1(VALU_DEP_4)
	v_and_b32_e32 v11, 0xffff, v11
	v_lshlrev_b32_e32 v12, 16, v12
	s_delay_alu instid0(VALU_DEP_3) | instskip(NEXT) | instid1(VALU_DEP_2)
	v_or_b32_e32 v2, v2, v3
	v_or3_b32 v3, v12, v11, 0
	v_add_nc_u32_e32 v11, v8, v7
	s_delay_alu instid0(VALU_DEP_3)
	v_or3_b32 v2, 0, 0, v2
	ds_store_b64 v11, v[2:3] offset:256
.LBB16_4:
	s_wait_alu 0xfffe
	s_or_b32 exec_lo, exec_lo, s2
	v_or_b32_e32 v11, 1, v5
	s_delay_alu instid0(VALU_DEP_1) | instskip(NEXT) | instid1(VALU_DEP_1)
	v_and_b32_e32 v12, 7, v11
	v_mad_co_u64_u32 v[2:3], null, s10, v12, 0
	s_delay_alu instid0(VALU_DEP_1) | instskip(NEXT) | instid1(VALU_DEP_1)
	v_mad_co_u64_u32 v[12:13], null, s11, v12, v[3:4]
	v_mov_b32_e32 v3, v12
	s_delay_alu instid0(VALU_DEP_1) | instskip(NEXT) | instid1(VALU_DEP_1)
	v_lshlrev_b64_e32 v[2:3], 2, v[2:3]
	v_add_co_u32 v2, s2, v9, v2
	s_wait_alu 0xf1ff
	s_delay_alu instid0(VALU_DEP_2)
	v_add_co_ci_u32_e64 v3, null, v10, v3, s2
	global_load_b128 v[16:19], v[2:3], off
	s_wait_loadcnt 0x0
	v_fma_mixlo_f16 v9, s4, v17, 0
	v_fma_mixlo_f16 v10, s4, v16, 0
	;; [unrolled: 1-line block ×4, first 2 shown]
	v_mad_u32_u24 v16, 0x180, v11, v8
	v_lshlrev_b32_e32 v9, 16, v9
	v_and_b32_e32 v10, 0xffff, v10
	v_and_b32_e32 v12, 0xffff, v12
	v_lshlrev_b32_e32 v13, 16, v13
	s_delay_alu instid0(VALU_DEP_3) | instskip(NEXT) | instid1(VALU_DEP_2)
	v_or_b32_e32 v9, v9, v10
	v_or3_b32 v10, v13, v12, 0
	s_delay_alu instid0(VALU_DEP_2)
	v_or3_b32 v9, 0, 0, v9
	ds_store_b64 v16, v[9:10]
	s_and_saveexec_b32 s2, vcc_lo
	s_cbranch_execz .LBB16_6
; %bb.5:
	global_load_b128 v[16:19], v[2:3], off offset:512
	v_mul_u32_u24_e32 v11, 0x180, v11
	s_delay_alu instid0(VALU_DEP_1)
	v_add_nc_u32_e32 v8, v8, v11
	s_wait_loadcnt 0x0
	v_fma_mixlo_f16 v2, s4, v17, 0
	v_fma_mixlo_f16 v3, s4, v16, 0
	;; [unrolled: 1-line block ×4, first 2 shown]
	s_delay_alu instid0(VALU_DEP_4) | instskip(NEXT) | instid1(VALU_DEP_4)
	v_lshlrev_b32_e32 v2, 16, v2
	v_and_b32_e32 v3, 0xffff, v3
	s_delay_alu instid0(VALU_DEP_4) | instskip(NEXT) | instid1(VALU_DEP_4)
	v_and_b32_e32 v9, 0xffff, v9
	v_lshlrev_b32_e32 v10, 16, v10
	s_delay_alu instid0(VALU_DEP_3) | instskip(NEXT) | instid1(VALU_DEP_2)
	v_or_b32_e32 v2, v2, v3
	v_or3_b32 v3, v10, v9, 0
	s_delay_alu instid0(VALU_DEP_2)
	v_or3_b32 v2, 0, 0, v2
	ds_store_b64 v8, v[2:3] offset:256
.LBB16_6:
	s_wait_alu 0xfffe
	s_or_b32 exec_lo, exec_lo, s2
	s_cmp_eq_u64 s[14:15], 0
	s_wait_dscnt 0x0
	s_barrier_signal -1
	s_barrier_wait -1
	global_inv scope:SCOPE_SE
	s_cbranch_scc1 .LBB16_8
; %bb.7:
	s_load_b32 s2, s[0:1], 0xd0
	s_mov_b32 s5, 0
	s_wait_kmcnt 0x0
	s_mul_i32 s2, s2, s28
	s_wait_alu 0xfffe
	s_add_co_i32 s4, s2, ttmp9
	s_wait_alu 0xfffe
	s_lshl_b64 s[4:5], s[4:5], 2
	s_wait_alu 0xfffe
	s_add_nc_u64 s[4:5], s[14:15], s[4:5]
	s_load_b32 s30, s[4:5], 0x0
.LBB16_8:
	s_and_b32 s10, ttmp7, 0xffff
	v_mbcnt_lo_u32_b32 v16, -1, 0
	s_wait_alu 0xfffe
	s_lshl_b32 s14, s10, 5
	s_wait_kmcnt 0x0
	s_cmp_lt_i32 s14, s30
	s_cbranch_scc1 .LBB16_11
; %bb.9:
	v_mbcnt_lo_u32_b32 v8, -1, 0
	v_mov_b32_e32 v17, 32
	s_delay_alu instid0(VALU_DEP_2)
	v_xor_b32_e32 v22, 16, v8
	v_xor_b32_e32 v21, 8, v8
	v_xor_b32_e32 v20, 4, v8
	v_xor_b32_e32 v19, 2, v8
	v_xor_b32_e32 v18, 1, v8
	v_lshlrev_b32_e32 v13, 2, v0
	s_mov_b32 s29, 0
	s_cbranch_execz .LBB16_12
; %bb.10:
	v_dual_mov_b32 v36, 0 :: v_dual_mov_b32 v3, 0xfeffffff
	v_dual_mov_b32 v38, 0 :: v_dual_mov_b32 v39, 0
	;; [unrolled: 1-line block ×4, first 2 shown]
	s_branch .LBB16_15
.LBB16_11:
                                        ; implicit-def: $vgpr8
                                        ; implicit-def: $vgpr17
                                        ; implicit-def: $vgpr22
                                        ; implicit-def: $vgpr21
                                        ; implicit-def: $vgpr20
                                        ; implicit-def: $vgpr19
                                        ; implicit-def: $vgpr18
	v_lshlrev_b32_e32 v13, 2, v0
	s_mov_b32 s29, 0
.LBB16_12:
	s_mul_f32 s2, s24, 0x4f7ffffe
	s_clause 0x1
	s_load_b128 s[24:27], s[0:1], 0x98
	s_load_b64 s[4:5], s[0:1], 0x8c
	s_sub_co_i32 s15, 0, s31
	v_lshrrev_b32_e32 v2, 3, v0
	s_cvt_u32_f32 s11, s2
	v_dual_mov_b32 v34, 0 :: v_dual_and_b32 v3, 28, v13
	s_abs_i32 s2, s33
	s_wait_alu 0xfffe
	s_mul_i32 s15, s15, s11
	s_mov_b32 s21, s3
	s_mul_hi_u32 s15, s11, s15
	v_lshrrev_b32_e32 v9, 4, v0
	s_add_co_i32 s20, s11, s15
	v_lshl_add_u32 v2, v6, 2, v2
	v_dual_mov_b32 v17, 32 :: v_dual_lshlrev_b32 v10, 2, v3
	v_and_b32_e32 v12, 60, v13
	s_wait_alu 0xfffe
	s_mul_u64 s[20:21], s[2:3], s[20:21]
	v_add_nc_u32_e32 v5, v9, v5
	v_mad_u32_u24 v23, 0x90, v2, v10
	s_wait_kmcnt 0x0
	s_ashr_i32 s20, s26, 2
	s_ashr_i32 s26, s4, 2
	;; [unrolled: 1-line block ×3, first 2 shown]
	v_mul_lo_u32 v8, s26, v2
	v_dual_mov_b32 v37, 0 :: v_dual_lshlrev_b32 v2, 2, v12
	s_load_b64 s[38:39], s[0:1], 0xa8
	s_mul_i32 s3, s21, s31
	s_ashr_i32 s36, s33, 31
	s_delay_alu instid0(VALU_DEP_1)
	v_lshl_or_b32 v27, v5, 8, v2
	v_mov_b32_e32 v2, 0xfeffffff
	v_mul_lo_u32 v32, s20, v5
	s_wait_alu 0xfffe
	s_sub_co_i32 s2, s2, s3
	s_ashr_i32 s11, s37, 1
	s_xor_b32 s15, s36, s40
	s_add_co_i32 s36, s21, 1
	s_wait_alu 0xfffe
	s_sub_co_i32 s3, s2, s31
	s_cmp_ge_u32 s2, s31
	v_lshl_add_u32 v10, s26, 4, v8
	s_cselect_b32 s4, s36, s21
	s_wait_alu 0xfffe
	s_cselect_b32 s2, s3, s2
	v_lshl_add_u32 v35, s20, 3, v32
	s_add_co_i32 s3, s4, 1
	s_wait_alu 0xfffe
	s_cmp_ge_u32 s2, s31
	v_ashrrev_i32_e32 v9, 31, v8
	s_cselect_b32 s4, s3, s4
	v_ashrrev_i32_e32 v11, 31, v10
	v_ashrrev_i32_e32 v33, 31, v32
	;; [unrolled: 1-line block ×3, first 2 shown]
	s_wait_alu 0xfffe
	s_xor_b32 s4, s4, s15
	v_lshl_add_u32 v28, v6, 7, 0x1e00
	s_mul_u64 s[2:3], s[24:25], s[28:29]
	s_wait_kmcnt 0x0
	s_mul_u64 s[24:25], s[38:39], s[28:29]
	s_wait_alu 0xfffe
	s_sub_co_i32 s15, s4, s15
	v_mad_co_u64_u32 v[4:5], null, v4, s11, v[0:1]
	s_mul_i32 s4, s15, s5
	s_add_nc_u64 s[8:9], s[8:9], s[24:25]
	s_mul_i32 s24, s15, s27
	v_add_nc_u32_e32 v26, 0x1200, v7
	v_lshlrev_b64_e32 v[5:6], 2, v[8:9]
	v_lshlrev_b64_e32 v[7:8], 2, v[10:11]
	;; [unrolled: 1-line block ×3, first 2 shown]
	v_lshlrev_b32_e32 v32, 2, v12
	v_lshlrev_b64_e32 v[11:12], 2, v[35:36]
	v_dual_mov_b32 v39, 0 :: v_dual_add_nc_u32 v24, 0x900, v23
	v_mul_u32_u24_e32 v25, 0x90, v0
	v_dual_mov_b32 v36, 0 :: v_dual_add_nc_u32 v29, 0x800, v27
	v_dual_mov_b32 v3, 0xfeffffff :: v_dual_lshlrev_b32 v30, 2, v3
	v_xor_b32_e32 v22, 16, v16
	v_xor_b32_e32 v21, 8, v16
	;; [unrolled: 1-line block ×5, first 2 shown]
	v_dual_mov_b32 v38, 0 :: v_dual_add_nc_u32 v31, v28, v13
	v_add_nc_u32_e32 v33, 0x800, v15
	v_mov_b32_e32 v35, 0
	s_add_nc_u64 s[2:3], s[6:7], s[2:3]
	s_wait_alu 0xfffe
	s_ashr_i32 s5, s4, 31
	s_ashr_i32 s25, s24, 31
	s_wait_alu 0xfffe
	s_add_nc_u64 s[6:7], s[2:3], s[4:5]
	s_add_nc_u64 s[8:9], s[8:9], s[24:25]
	s_ashr_i32 s27, s26, 31
	s_ashr_i32 s21, s20, 31
	s_add_nc_u64 s[24:25], s[0:1], 0xd0
.LBB16_13:                              ; =>This Inner Loop Header: Depth=1
	s_ashr_i32 s15, s14, 31
	v_dual_mov_b32 v40, 0 :: v_dual_mov_b32 v41, 0
	s_wait_alu 0xfffe
	s_mul_u64 s[2:3], s[14:15], s[26:27]
	v_mov_b32_e32 v60, v2
	s_wait_alu 0xfffe
	s_lshl_b64 s[2:3], s[2:3], 2
	s_mul_u64 s[4:5], s[14:15], s[20:21]
	s_wait_alu 0xfffe
	s_add_nc_u64 s[2:3], s[6:7], s[2:3]
	s_lshl_b64 s[4:5], s[4:5], 2
	s_wait_alu 0xfffe
	v_add_co_u32 v42, vcc_lo, s2, v5
	s_wait_alu 0xfffd
	v_add_co_ci_u32_e64 v43, null, s3, v6, vcc_lo
	v_add_co_u32 v44, vcc_lo, s2, v7
	s_wait_alu 0xfffd
	v_add_co_ci_u32_e64 v45, null, s3, v8, vcc_lo
	;; [unrolled: 3-line block ×4, first 2 shown]
	s_clause 0x1
	global_load_b128 v[42:45], v[55:56], off
	global_load_b128 v[46:49], v[57:58], off
	v_cmp_gt_i32_e32 vcc_lo, 32, v22
	s_or_b32 s2, s14, 16
	s_add_nc_u64 s[4:5], s[8:9], s[4:5]
	s_wait_alu 0xfffe
	s_ashr_i32 s3, s2, 31
	s_wait_loadcnt 0x1
	ds_store_b128 v23, v[42:45]
	s_wait_loadcnt 0x0
	ds_store_b128 v24, v[46:49]
	s_wait_dscnt 0x0
	s_barrier_signal -1
	s_barrier_wait -1
	global_inv scope:SCOPE_SE
	ds_load_b128 v[42:45], v25
	ds_load_b128 v[46:49], v26
	ds_load_b128 v[50:53], v26 offset:384
	s_wait_alu 0xfffe
	s_mul_u64 s[2:3], s[2:3], s[20:21]
	s_wait_dscnt 0x1
	;;#ASMSTART
	v_dot2_f32_f16 v40, v42, v46, v40
	;;#ASMEND
	;;#ASMSTART
	v_dot2_f32_f16 v40, v43, v47, v40
	;;#ASMEND
	;; [unrolled: 3-line block ×4, first 2 shown]
	s_wait_dscnt 0x0
	;;#ASMSTART
	v_dot2_f32_f16 v41, v42, v50, v41
	;;#ASMEND
	;;#ASMSTART
	v_dot2_f32_f16 v41, v43, v51, v41
	;;#ASMEND
	;; [unrolled: 3-line block ×4, first 2 shown]
	ds_load_b128 v[42:45], v25 offset:16
	ds_load_b128 v[46:49], v26 offset:16
	ds_load_b128 v[50:53], v26 offset:400
	s_wait_alu 0xfffe
	s_lshl_b64 s[2:3], s[2:3], 2
	s_wait_dscnt 0x1
	;;#ASMSTART
	v_dot2_f32_f16 v40, v42, v46, v40
	;;#ASMEND
	;;#ASMSTART
	v_dot2_f32_f16 v40, v43, v47, v40
	;;#ASMEND
	;; [unrolled: 3-line block ×4, first 2 shown]
	s_wait_dscnt 0x0
	;;#ASMSTART
	v_dot2_f32_f16 v41, v42, v50, v41
	;;#ASMEND
	;;#ASMSTART
	v_dot2_f32_f16 v41, v43, v51, v41
	;;#ASMEND
	;; [unrolled: 3-line block ×4, first 2 shown]
	ds_load_b128 v[42:45], v25 offset:32
	ds_load_b128 v[46:49], v26 offset:32
	ds_load_b128 v[50:53], v26 offset:416
	s_wait_alu 0xfffe
	s_add_nc_u64 s[2:3], s[8:9], s[2:3]
	s_wait_dscnt 0x1
	;;#ASMSTART
	v_dot2_f32_f16 v40, v42, v46, v40
	;;#ASMEND
	;;#ASMSTART
	v_dot2_f32_f16 v40, v43, v47, v40
	;;#ASMEND
	;;#ASMSTART
	v_dot2_f32_f16 v40, v44, v48, v40
	;;#ASMEND
	;;#ASMSTART
	v_dot2_f32_f16 v40, v45, v49, v40
	;;#ASMEND
	s_wait_dscnt 0x0
	;;#ASMSTART
	v_dot2_f32_f16 v41, v42, v50, v41
	;;#ASMEND
	;;#ASMSTART
	v_dot2_f32_f16 v41, v43, v51, v41
	;;#ASMEND
	;;#ASMSTART
	v_dot2_f32_f16 v41, v44, v52, v41
	;;#ASMEND
	;;#ASMSTART
	v_dot2_f32_f16 v41, v45, v53, v41
	;;#ASMEND
	ds_load_b128 v[42:45], v25 offset:48
	ds_load_b128 v[46:49], v26 offset:48
	ds_load_b128 v[50:53], v26 offset:432
	s_wait_dscnt 0x1
	;;#ASMSTART
	v_dot2_f32_f16 v40, v42, v46, v40
	;;#ASMEND
	;;#ASMSTART
	v_dot2_f32_f16 v40, v43, v47, v40
	;;#ASMEND
	;;#ASMSTART
	v_dot2_f32_f16 v40, v44, v48, v40
	;;#ASMEND
	;;#ASMSTART
	v_dot2_f32_f16 v40, v45, v49, v40
	;;#ASMEND
	s_wait_dscnt 0x0
	;;#ASMSTART
	v_dot2_f32_f16 v41, v42, v50, v41
	;;#ASMEND
	;;#ASMSTART
	v_dot2_f32_f16 v41, v43, v51, v41
	;;#ASMEND
	;;#ASMSTART
	v_dot2_f32_f16 v41, v44, v52, v41
	;;#ASMEND
	;;#ASMSTART
	v_dot2_f32_f16 v41, v45, v53, v41
	;;#ASMEND
	ds_load_b128 v[42:45], v25 offset:64
	ds_load_b128 v[46:49], v26 offset:64
	ds_load_b128 v[50:53], v26 offset:448
	;; [unrolled: 29-line block ×5, first 2 shown]
	s_wait_dscnt 0x1
	;;#ASMSTART
	v_dot2_f32_f16 v40, v42, v46, v40
	;;#ASMEND
	;;#ASMSTART
	v_dot2_f32_f16 v40, v43, v47, v40
	;;#ASMEND
	;; [unrolled: 3-line block ×4, first 2 shown]
	s_wait_dscnt 0x0
	;;#ASMSTART
	v_dot2_f32_f16 v41, v42, v50, v41
	;;#ASMEND
	;;#ASMSTART
	v_dot2_f32_f16 v41, v43, v51, v41
	;;#ASMEND
	;; [unrolled: 3-line block ×4, first 2 shown]
	s_wait_loadcnt 0x0
	s_barrier_signal -1
	s_barrier_wait -1
	global_inv scope:SCOPE_SE
	s_clause 0x1
	global_load_b128 v[43:46], v[55:56], off offset:128
	global_load_b128 v[47:50], v[57:58], off offset:128
	v_dual_mov_b32 v42, v39 :: v_dual_mov_b32 v59, v3
	s_wait_loadcnt 0x1
	ds_store_b128 v23, v[43:46]
	s_wait_loadcnt 0x0
	ds_store_b128 v24, v[47:50]
	s_wait_dscnt 0x0
	s_barrier_signal -1
	s_barrier_wait -1
	global_inv scope:SCOPE_SE
	ds_load_b128 v[43:46], v25
	ds_load_b128 v[47:50], v26 offset:128
	ds_load_b128 v[51:54], v26 offset:512
	s_wait_dscnt 0x1
	;;#ASMSTART
	v_dot2_f32_f16 v40, v43, v47, v40
	;;#ASMEND
	;;#ASMSTART
	v_dot2_f32_f16 v40, v44, v48, v40
	;;#ASMEND
	;;#ASMSTART
	v_dot2_f32_f16 v40, v45, v49, v40
	;;#ASMEND
	;;#ASMSTART
	v_dot2_f32_f16 v40, v46, v50, v40
	;;#ASMEND
	s_wait_dscnt 0x0
	;;#ASMSTART
	v_dot2_f32_f16 v41, v43, v51, v41
	;;#ASMEND
	;;#ASMSTART
	v_dot2_f32_f16 v41, v44, v52, v41
	;;#ASMEND
	;;#ASMSTART
	v_dot2_f32_f16 v41, v45, v53, v41
	;;#ASMEND
	;;#ASMSTART
	v_dot2_f32_f16 v41, v46, v54, v41
	;;#ASMEND
	ds_load_b128 v[43:46], v25 offset:16
	ds_load_b128 v[47:50], v26 offset:144
	ds_load_b128 v[51:54], v26 offset:528
	s_wait_dscnt 0x1
	;;#ASMSTART
	v_dot2_f32_f16 v40, v43, v47, v40
	;;#ASMEND
	;;#ASMSTART
	v_dot2_f32_f16 v40, v44, v48, v40
	;;#ASMEND
	;;#ASMSTART
	v_dot2_f32_f16 v40, v45, v49, v40
	;;#ASMEND
	;;#ASMSTART
	v_dot2_f32_f16 v40, v46, v50, v40
	;;#ASMEND
	s_wait_dscnt 0x0
	;;#ASMSTART
	v_dot2_f32_f16 v41, v43, v51, v41
	;;#ASMEND
	;;#ASMSTART
	v_dot2_f32_f16 v41, v44, v52, v41
	;;#ASMEND
	;;#ASMSTART
	v_dot2_f32_f16 v41, v45, v53, v41
	;;#ASMEND
	;;#ASMSTART
	v_dot2_f32_f16 v41, v46, v54, v41
	;;#ASMEND
	ds_load_b128 v[43:46], v25 offset:32
	;; [unrolled: 29-line block ×7, first 2 shown]
	ds_load_b128 v[47:50], v26 offset:240
	ds_load_b128 v[51:54], v26 offset:624
	s_wait_dscnt 0x1
	;;#ASMSTART
	v_dot2_f32_f16 v40, v43, v47, v40
	;;#ASMEND
	;;#ASMSTART
	v_dot2_f32_f16 v40, v44, v48, v40
	;;#ASMEND
	;; [unrolled: 3-line block ×4, first 2 shown]
	s_wait_dscnt 0x0
	;;#ASMSTART
	v_dot2_f32_f16 v41, v43, v51, v41
	;;#ASMEND
	;;#ASMSTART
	v_dot2_f32_f16 v41, v44, v52, v41
	;;#ASMEND
	;; [unrolled: 3-line block ×4, first 2 shown]
	s_wait_loadcnt 0x0
	s_barrier_signal -1
	s_barrier_wait -1
	global_inv scope:SCOPE_SE
	s_clause 0x1
	global_load_b128 v[43:46], v[55:56], off offset:256
	global_load_b128 v[47:50], v[57:58], off offset:256
	s_wait_alu 0xfffd
	v_dual_mov_b32 v57, v38 :: v_dual_cndmask_b32 v38, v16, v22
	v_max_num_f32_e32 v61, v59, v59
	v_cmp_gt_i32_e32 vcc_lo, 32, v21
	v_add_nc_u32_e32 v2, s14, v4
	s_wait_loadcnt 0x1
	ds_store_b128 v23, v[43:46]
	s_wait_loadcnt 0x0
	ds_store_b128 v24, v[47:50]
	s_wait_alu 0xfffd
	v_cndmask_b32_e32 v39, v16, v21, vcc_lo
	v_cmp_gt_i32_e32 vcc_lo, 32, v20
	v_ashrrev_i32_e32 v3, 31, v2
	v_max_num_f32_e32 v58, v60, v60
	v_lshlrev_b32_e32 v62, 2, v38
	v_lshlrev_b32_e32 v63, 2, v39
	s_wait_alu 0xfffd
	v_cndmask_b32_e32 v51, v16, v20, vcc_lo
	v_cmp_gt_i32_e32 vcc_lo, 32, v19
	v_lshlrev_b64_e32 v[2:3], 1, v[2:3]
	s_wait_dscnt 0x0
	s_barrier_signal -1
	v_lshlrev_b32_e32 v64, 2, v51
	s_wait_alu 0xfffd
	v_cndmask_b32_e32 v52, v16, v19, vcc_lo
	v_cmp_gt_i32_e32 vcc_lo, 32, v18
	s_barrier_wait -1
	global_inv scope:SCOPE_SE
	v_lshlrev_b32_e32 v65, 2, v52
	s_wait_alu 0xfffd
	v_cndmask_b32_e32 v53, v16, v18, vcc_lo
	v_add_co_u32 v39, vcc_lo, s4, v9
	s_wait_alu 0xfffd
	v_add_co_ci_u32_e64 v51, null, s5, v10, vcc_lo
	v_add_co_u32 v38, vcc_lo, s4, v11
	s_wait_alu 0xfffd
	v_add_co_ci_u32_e64 v67, null, s5, v12, vcc_lo
	s_wait_alu 0xfffe
	v_add_co_u32 v68, vcc_lo, s2, v9
	s_wait_alu 0xfffd
	v_add_co_ci_u32_e64 v69, null, s3, v10, vcc_lo
	v_add_co_u32 v70, vcc_lo, s2, v11
	v_add_co_u32 v2, s2, s34, v2
	s_wait_alu 0xf1ff
	v_add_co_ci_u32_e64 v3, null, s35, v3, s2
	v_add_co_u32 v55, s2, v39, v32
	v_lshlrev_b32_e32 v66, 2, v53
	s_wait_alu 0xf1ff
	v_add_co_ci_u32_e64 v56, null, 0, v51, s2
	ds_load_b128 v[43:46], v25
	ds_load_b128 v[47:50], v26 offset:256
	ds_load_b128 v[51:54], v26 offset:640
	s_wait_dscnt 0x1
	;;#ASMSTART
	v_dot2_f32_f16 v40, v43, v47, v40
	;;#ASMEND
	;;#ASMSTART
	v_dot2_f32_f16 v40, v44, v48, v40
	;;#ASMEND
	;;#ASMSTART
	v_dot2_f32_f16 v40, v45, v49, v40
	;;#ASMEND
	;;#ASMSTART
	v_dot2_f32_f16 v40, v46, v50, v40
	;;#ASMEND
	s_wait_dscnt 0x0
	;;#ASMSTART
	v_dot2_f32_f16 v41, v43, v51, v41
	;;#ASMEND
	;;#ASMSTART
	v_dot2_f32_f16 v41, v44, v52, v41
	;;#ASMEND
	;;#ASMSTART
	v_dot2_f32_f16 v41, v45, v53, v41
	;;#ASMEND
	;;#ASMSTART
	v_dot2_f32_f16 v41, v46, v54, v41
	;;#ASMEND
	ds_load_b128 v[43:46], v25 offset:16
	ds_load_b128 v[47:50], v26 offset:272
	ds_load_b128 v[51:54], v26 offset:656
	s_wait_dscnt 0x1
	;;#ASMSTART
	v_dot2_f32_f16 v40, v43, v47, v40
	;;#ASMEND
	;;#ASMSTART
	v_dot2_f32_f16 v40, v44, v48, v40
	;;#ASMEND
	;;#ASMSTART
	v_dot2_f32_f16 v40, v45, v49, v40
	;;#ASMEND
	;;#ASMSTART
	v_dot2_f32_f16 v40, v46, v50, v40
	;;#ASMEND
	s_wait_dscnt 0x0
	;;#ASMSTART
	v_dot2_f32_f16 v41, v43, v51, v41
	;;#ASMEND
	;;#ASMSTART
	v_dot2_f32_f16 v41, v44, v52, v41
	;;#ASMEND
	;;#ASMSTART
	v_dot2_f32_f16 v41, v45, v53, v41
	;;#ASMEND
	;;#ASMSTART
	v_dot2_f32_f16 v41, v46, v54, v41
	;;#ASMEND
	ds_load_b128 v[43:46], v25 offset:32
	;; [unrolled: 29-line block ×7, first 2 shown]
	ds_load_b128 v[47:50], v26 offset:368
	ds_load_b128 v[51:54], v26 offset:752
	s_wait_dscnt 0x1
	;;#ASMSTART
	v_dot2_f32_f16 v40, v43, v47, v40
	;;#ASMEND
	;;#ASMSTART
	v_dot2_f32_f16 v40, v44, v48, v40
	;;#ASMEND
	;; [unrolled: 3-line block ×4, first 2 shown]
	s_wait_dscnt 0x0
	;;#ASMSTART
	v_dot2_f32_f16 v41, v43, v51, v41
	;;#ASMEND
	;;#ASMSTART
	v_dot2_f32_f16 v41, v44, v52, v41
	;;#ASMEND
	;; [unrolled: 3-line block ×4, first 2 shown]
	global_load_u16 v2, v[2:3], off
	s_wait_alu 0xfffd
	v_add_co_ci_u32_e64 v71, null, s3, v12, vcc_lo
	v_add_co_u32 v38, vcc_lo, v38, v32
	s_wait_alu 0xfffd
	v_add_co_ci_u32_e64 v39, null, 0, v67, vcc_lo
	s_wait_loadcnt 0x0
	s_barrier_signal -1
	s_barrier_wait -1
	global_inv scope:SCOPE_SE
	s_clause 0x1
	global_load_b128 v[43:46], v[55:56], off
	global_load_b128 v[47:50], v[38:39], off
	v_add_co_u32 v76, vcc_lo, v68, v32
	s_wait_alu 0xfffd
	v_add_co_ci_u32_e64 v77, null, 0, v69, vcc_lo
	v_add_co_u32 v78, vcc_lo, v70, v32
	s_wait_alu 0xfffd
	v_add_co_ci_u32_e64 v79, null, 0, v71, vcc_lo
	v_cvt_f32_f16_e32 v2, v2
	s_delay_alu instid0(VALU_DEP_1) | instskip(NEXT) | instid1(VALU_DEP_1)
	v_add_f32_e32 v39, v41, v2
	v_dual_add_f32 v38, v40, v2 :: v_dual_add_f32 v3, 0x40051340, v39
	s_delay_alu instid0(VALU_DEP_1)
	v_dual_add_f32 v2, 0x40051340, v38 :: v_dual_max_num_f32 v3, v61, v3
	ds_bpermute_b32 v41, v62, v3
	s_wait_dscnt 0x0
	v_dual_max_num_f32 v2, v58, v2 :: v_dual_max_num_f32 v41, v41, v41
	ds_bpermute_b32 v40, v62, v2
	v_max_num_f32_e32 v3, v3, v41
	ds_bpermute_b32 v41, v63, v3
	s_wait_dscnt 0x1
	v_max_num_f32_e32 v40, v40, v40
	s_wait_dscnt 0x0
	s_delay_alu instid0(VALU_DEP_1)
	v_dual_max_num_f32 v2, v2, v40 :: v_dual_max_num_f32 v41, v41, v41
	ds_bpermute_b32 v40, v63, v2
	v_max_num_f32_e32 v3, v3, v41
	ds_bpermute_b32 v41, v64, v3
	s_wait_dscnt 0x1
	v_max_num_f32_e32 v40, v40, v40
	s_wait_dscnt 0x0
	s_delay_alu instid0(VALU_DEP_1)
	;; [unrolled: 8-line block ×3, first 2 shown]
	v_dual_max_num_f32 v2, v2, v40 :: v_dual_max_num_f32 v41, v41, v41
	ds_bpermute_b32 v40, v65, v2
	v_max_num_f32_e32 v3, v3, v41
	ds_bpermute_b32 v41, v66, v3
	s_wait_dscnt 0x1
	v_max_num_f32_e32 v40, v40, v40
	s_wait_dscnt 0x0
	s_delay_alu instid0(VALU_DEP_1) | instskip(SKIP_2) | instid1(VALU_DEP_1)
	v_dual_max_num_f32 v2, v2, v40 :: v_dual_max_num_f32 v41, v41, v41
	ds_bpermute_b32 v40, v66, v2
	v_max_num_f32_e32 v3, v3, v41
	v_sub_f32_e32 v41, v59, v3
	v_sub_f32_e32 v39, v39, v3
	s_delay_alu instid0(VALU_DEP_2) | instskip(SKIP_1) | instid1(VALU_DEP_3)
	v_mul_f32_e32 v53, 0x3fb8aa3b, v41
	v_cmp_ngt_f32_e64 s2, 0xc2ce8ed0, v41
	v_cmp_ngt_f32_e64 s3, 0xc2ce8ed0, v39
	s_delay_alu instid0(VALU_DEP_3) | instskip(SKIP_2) | instid1(VALU_DEP_1)
	v_rndne_f32_e32 v61, v53
	s_wait_dscnt 0x0
	v_max_num_f32_e32 v40, v40, v40
	v_max_num_f32_e32 v2, v2, v40
	s_delay_alu instid0(VALU_DEP_1) | instskip(SKIP_4) | instid1(VALU_DEP_4)
	v_sub_f32_e32 v40, v60, v2
	v_sub_f32_e32 v38, v38, v2
	v_fma_f32 v60, 0x3fb8aa3b, v41, -v53
	v_sub_f32_e32 v53, v53, v61
	v_cvt_i32_f32_e32 v61, v61
	v_dual_mul_f32 v51, 0x3fb8aa3b, v40 :: v_dual_mul_f32 v52, 0x3fb8aa3b, v38
	v_cmp_ngt_f32_e32 vcc_lo, 0xc2ce8ed0, v38
	v_cmp_ngt_f32_e64 s4, 0xc2ce8ed0, v40
	s_delay_alu instid0(VALU_DEP_3)
	v_fma_f32 v55, 0x3fb8aa3b, v40, -v51
	v_rndne_f32_e32 v56, v51
	v_mul_f32_e32 v54, 0x3fb8aa3b, v39
	v_fma_f32 v58, 0x3fb8aa3b, v38, -v52
	v_rndne_f32_e32 v59, v52
	v_fmac_f32_e32 v55, 0x32a5705f, v40
	v_sub_f32_e32 v51, v51, v56
	v_fma_f32 v62, 0x3fb8aa3b, v39, -v54
	v_fmac_f32_e32 v58, 0x32a5705f, v38
	v_sub_f32_e32 v52, v52, v59
	s_delay_alu instid0(VALU_DEP_4) | instskip(NEXT) | instid1(VALU_DEP_4)
	v_dual_fmac_f32 v60, 0x32a5705f, v41 :: v_dual_add_f32 v51, v51, v55
	v_fmac_f32_e32 v62, 0x32a5705f, v39
	v_cvt_i32_f32_e32 v56, v56
	s_delay_alu instid0(VALU_DEP_3) | instskip(NEXT) | instid1(VALU_DEP_4)
	v_dual_add_f32 v52, v52, v58 :: v_dual_add_f32 v53, v53, v60
	v_exp_f32_e32 v51, v51
	v_cvt_i32_f32_e32 v59, v59
	v_rndne_f32_e32 v63, v54
	s_delay_alu instid0(VALU_DEP_3) | instskip(SKIP_1) | instid1(TRANS32_DEP_3)
	v_exp_f32_e32 v52, v52
	v_exp_f32_e32 v53, v53
	v_ldexp_f32 v51, v51, v56
	s_delay_alu instid0(TRANS32_DEP_2) | instskip(NEXT) | instid1(TRANS32_DEP_1)
	v_ldexp_f32 v52, v52, v59
	v_ldexp_f32 v53, v53, v61
	s_wait_alu 0xf1ff
	s_delay_alu instid0(VALU_DEP_3)
	v_cndmask_b32_e64 v51, 0, v51, s4
	v_cmp_nlt_f32_e64 s4, 0x42b17218, v40
	s_wait_alu 0xfffd
	v_cndmask_b32_e32 v40, 0, v52, vcc_lo
	v_cndmask_b32_e64 v53, 0, v53, s2
	v_cmp_nlt_f32_e32 vcc_lo, 0x42b17218, v41
	v_sub_f32_e32 v54, v54, v63
	v_cvt_i32_f32_e32 v63, v63
	v_cmp_nlt_f32_e64 s2, 0x42b17218, v39
	s_wait_alu 0xfffd
	s_delay_alu instid0(VALU_DEP_3) | instskip(NEXT) | instid1(VALU_DEP_1)
	v_dual_cndmask_b32 v41, 0x7f800000, v53 :: v_dual_add_f32 v54, v54, v62
	v_exp_f32_e32 v54, v54
	s_delay_alu instid0(TRANS32_DEP_1) | instskip(NEXT) | instid1(VALU_DEP_1)
	v_ldexp_f32 v54, v54, v63
	v_cndmask_b32_e64 v52, 0, v54, s3
	v_cmp_nlt_f32_e64 s3, 0x42b17218, v38
	s_wait_alu 0xf1ff
	s_delay_alu instid0(VALU_DEP_2) | instskip(NEXT) | instid1(VALU_DEP_2)
	v_cndmask_b32_e64 v38, 0x7f800000, v52, s2
	v_cndmask_b32_e64 v39, 0x7f800000, v40, s3
	;; [unrolled: 1-line block ×3, first 2 shown]
	s_delay_alu instid0(VALU_DEP_3) | instskip(NEXT) | instid1(VALU_DEP_3)
	v_cvt_f16_f32_e32 v52, v38
	v_cvt_f16_f32_e32 v51, v39
	s_delay_alu instid0(VALU_DEP_3)
	v_fmac_f32_e32 v39, v42, v40
	v_cvt_f16_f32_e32 v40, v40
	v_cvt_f16_f32_e32 v42, v41
	v_fmac_f32_e32 v38, v57, v41
	v_pack_b32_f16 v51, v51, v52
	ds_store_b32 v31, v51
	s_wait_loadcnt 0x1
	ds_store_b128 v27, v[43:46]
	s_wait_loadcnt 0x0
	ds_store_b128 v29, v[47:50]
	v_and_b32_e32 v52, 0xffff, v40
	v_and_b32_e32 v53, 0xffff, v42
	s_wait_dscnt 0x0
	s_barrier_signal -1
	s_barrier_wait -1
	global_inv scope:SCOPE_SE
	ds_load_b128 v[40:43], v28
	ds_load_b128 v[44:47], v28 offset:16
	v_mul_u32_u24_e32 v80, 0x10001, v52
	v_mul_u32_u24_e32 v81, 0x10001, v53
	ds_load_2addr_b64 v[48:51], v15 offset1:32
	ds_load_b128 v[52:55], v28 offset:32
	ds_load_b128 v[56:59], v28 offset:48
	ds_load_2addr_b64 v[60:63], v15 offset0:64 offset1:96
	ds_load_2addr_b64 v[64:67], v15 offset0:128 offset1:160
	;; [unrolled: 1-line block ×3, first 2 shown]
	ds_load_2addr_b64 v[72:75], v33 offset1:32
	s_wait_dscnt 0x5
	v_lshrrev_b32_e32 v98, 16, v55
	v_and_b32_e32 v83, 0xffff, v40
	v_lshrrev_b32_e32 v82, 16, v40
	v_lshrrev_b32_e32 v94, 16, v46
	v_and_b32_e32 v95, 0xffff, v46
	v_and_b32_e32 v85, 0xffff, v41
	v_mul_u32_u24_e32 v46, 0x10001, v83
	v_lshrrev_b32_e32 v90, 16, v44
	v_and_b32_e32 v91, 0xffff, v44
	v_lshrrev_b32_e32 v92, 16, v45
	v_and_b32_e32 v93, 0xffff, v45
	v_lshrrev_b32_e32 v96, 16, v47
	v_and_b32_e32 v97, 0xffff, v47
	v_pk_mul_f16 v44, v37, v80
	v_pk_mul_f16 v45, v34, v81
	v_mul_u32_u24_e32 v47, 0x10001, v82
	v_pk_mul_f16 v34, v48, v46
	v_lshrrev_b32_e32 v84, 16, v41
	v_and_b32_e32 v87, 0xffff, v42
	v_pk_fma_f16 v44, v49, v46, v44
	v_pk_mul_f16 v37, v48, v47
	v_pk_fma_f16 v48, v36, v80, v34
	v_mul_u32_u24_e32 v46, 0x10001, v85
	v_lshrrev_b32_e32 v86, 16, v42
	v_pk_fma_f16 v45, v49, v47, v45
	v_pk_fma_f16 v80, v35, v81, v37
	v_lshrrev_b32_e32 v81, 16, v52
	v_and_b32_e32 v82, 0xffff, v52
	v_pk_fma_f16 v49, v51, v46, v44
	v_pk_fma_f16 v48, v50, v46, v48
	v_mul_u32_u24_e32 v44, 0x10001, v84
	v_mul_u32_u24_e32 v52, 0x10001, v87
	v_and_b32_e32 v89, 0xffff, v43
	v_lshrrev_b32_e32 v88, 16, v43
	ds_load_2addr_b64 v[40:43], v33 offset0:64 offset1:96
	v_pk_fma_f16 v51, v51, v44, v45
	v_pk_fma_f16 v50, v50, v44, v80
	s_wait_dscnt 0x4
	v_pk_fma_f16 v49, v61, v52, v49
	v_pk_fma_f16 v48, v60, v52, v48
	v_mul_u32_u24_e32 v52, 0x10001, v86
	ds_load_2addr_b64 v[34:37], v33 offset0:128 offset1:160
	v_lshrrev_b32_e32 v83, 16, v53
	v_and_b32_e32 v80, 0xffff, v53
	v_lshrrev_b32_e32 v84, 16, v54
	v_pk_fma_f16 v51, v61, v52, v51
	v_pk_fma_f16 v50, v60, v52, v50
	v_mul_u32_u24_e32 v52, 0x10001, v89
	v_and_b32_e32 v85, 0xffff, v54
	v_and_b32_e32 v99, 0xffff, v55
	ds_load_2addr_b64 v[44:47], v33 offset0:192 offset1:224
	s_wait_loadcnt_dscnt 0x0
	v_pk_fma_f16 v61, v62, v52, v48
	v_mul_u32_u24_e32 v48, 0x10001, v88
	s_barrier_signal -1
	s_barrier_wait -1
	global_inv scope:SCOPE_SE
	v_pk_fma_f16 v60, v63, v52, v49
	v_pk_fma_f16 v63, v63, v48, v51
	;; [unrolled: 1-line block ×3, first 2 shown]
	s_clause 0x1
	global_load_b128 v[48:51], v[76:77], off
	global_load_b128 v[52:55], v[78:79], off
	v_mul_u32_u24_e32 v76, 0x10001, v91
	v_mul_u32_u24_e32 v77, 0x10001, v90
	;; [unrolled: 1-line block ×5, first 2 shown]
	v_pk_fma_f16 v60, v65, v76, v60
	v_pk_fma_f16 v63, v65, v77, v63
	;; [unrolled: 1-line block ×4, first 2 shown]
	v_mul_u32_u24_e32 v91, 0x10001, v94
	v_pk_fma_f16 v60, v67, v78, v60
	v_pk_fma_f16 v63, v67, v79, v63
	v_pk_fma_f16 v61, v66, v78, v61
	v_pk_fma_f16 v62, v66, v79, v62
	v_mul_u32_u24_e32 v92, 0x10001, v97
	v_mul_u32_u24_e32 v93, 0x10001, v96
	v_pk_fma_f16 v60, v69, v90, v60
	v_pk_fma_f16 v63, v69, v91, v63
	v_pk_fma_f16 v61, v68, v90, v61
	v_pk_fma_f16 v62, v68, v91, v62
	v_mul_u32_u24_e32 v82, 0x10001, v82
	v_mul_u32_u24_e32 v81, 0x10001, v81
	v_pk_fma_f16 v60, v71, v92, v60
	v_pk_fma_f16 v63, v71, v93, v63
	v_pk_fma_f16 v61, v70, v92, v61
	v_pk_fma_f16 v62, v70, v93, v62
	v_mul_u32_u24_e32 v80, 0x10001, v80
	v_mul_u32_u24_e32 v83, 0x10001, v83
	v_pk_fma_f16 v60, v73, v82, v60
	v_pk_fma_f16 v63, v73, v81, v63
	v_pk_fma_f16 v61, v72, v82, v61
	v_pk_fma_f16 v62, v72, v81, v62
	v_mul_u32_u24_e32 v85, 0x10001, v85
	v_mul_u32_u24_e32 v84, 0x10001, v84
	v_pk_fma_f16 v60, v75, v80, v60
	v_pk_fma_f16 v63, v75, v83, v63
	v_pk_fma_f16 v61, v74, v80, v61
	v_pk_fma_f16 v62, v74, v83, v62
	v_lshrrev_b32_e32 v87, 16, v56
	v_and_b32_e32 v56, 0xffff, v56
	v_mul_u32_u24_e32 v94, 0x10001, v99
	v_mul_u32_u24_e32 v95, 0x10001, v98
	v_pk_fma_f16 v60, v41, v85, v60
	v_pk_fma_f16 v41, v41, v84, v63
	v_pk_fma_f16 v61, v40, v85, v61
	v_pk_fma_f16 v40, v40, v84, v62
	v_lshrrev_b32_e32 v86, 16, v57
	v_and_b32_e32 v57, 0xffff, v57
	v_mul_u32_u24_e32 v56, 0x10001, v56
	;; [unrolled: 8-line block ×4, first 2 shown]
	v_mul_u32_u24_e32 v88, 0x10001, v88
	v_pk_fma_f16 v40, v37, v57, v42
	v_pk_fma_f16 v35, v37, v86, v35
	;; [unrolled: 1-line block ×4, first 2 shown]
	v_mul_u32_u24_e32 v59, 0x10001, v59
	v_mul_u32_u24_e32 v89, 0x10001, v89
	v_pk_fma_f16 v36, v45, v58, v40
	v_pk_fma_f16 v35, v45, v88, v35
	;; [unrolled: 1-line block ×4, first 2 shown]
	s_wait_loadcnt 0x1
	ds_store_b128 v27, v[48:51]
	s_wait_loadcnt 0x0
	ds_store_b128 v29, v[52:55]
	v_pk_fma_f16 v76, v47, v59, v36
	v_pk_fma_f16 v77, v47, v89, v35
	;; [unrolled: 1-line block ×4, first 2 shown]
	s_wait_dscnt 0x0
	s_barrier_signal -1
	s_barrier_wait -1
	global_inv scope:SCOPE_SE
	ds_load_b128 v[34:37], v28 offset:64
	ds_load_b128 v[40:43], v28 offset:80
	ds_load_2addr_b64 v[44:47], v15 offset1:32
	ds_load_b128 v[48:51], v28 offset:96
	ds_load_b128 v[52:55], v28 offset:112
	ds_load_2addr_b64 v[56:59], v15 offset0:64 offset1:96
	ds_load_2addr_b64 v[60:63], v15 offset0:128 offset1:160
	;; [unrolled: 1-line block ×3, first 2 shown]
	ds_load_2addr_b64 v[68:71], v33 offset1:32
	ds_load_2addr_b64 v[72:75], v33 offset0:64 offset1:96
	s_wait_dscnt 0x9
	v_lshrrev_b32_e32 v80, 16, v34
	v_and_b32_e32 v81, 0xffff, v34
	v_and_b32_e32 v83, 0xffff, v35
	s_wait_dscnt 0x8
	v_lshrrev_b32_e32 v88, 16, v40
	v_and_b32_e32 v89, 0xffff, v40
	v_lshrrev_b32_e32 v92, 16, v42
	v_and_b32_e32 v93, 0xffff, v42
	v_mul_u32_u24_e32 v40, 0x10001, v81
	v_mul_u32_u24_e32 v42, 0x10001, v80
	v_lshrrev_b32_e32 v82, 16, v35
	v_lshrrev_b32_e32 v90, 16, v41
	v_and_b32_e32 v91, 0xffff, v41
	v_lshrrev_b32_e32 v94, 16, v43
	v_and_b32_e32 v95, 0xffff, v43
	s_wait_dscnt 0x7
	v_pk_fma_f16 v41, v44, v40, v78
	v_pk_fma_f16 v40, v45, v40, v76
	;; [unrolled: 1-line block ×4, first 2 shown]
	v_mul_u32_u24_e32 v45, 0x10001, v83
	v_lshrrev_b32_e32 v84, 16, v36
	v_and_b32_e32 v85, 0xffff, v36
	s_wait_dscnt 0x5
	v_lshrrev_b32_e32 v76, 16, v52
	v_and_b32_e32 v44, 0xffff, v52
	v_pk_fma_f16 v52, v46, v45, v41
	v_pk_fma_f16 v45, v47, v45, v40
	v_mul_u32_u24_e32 v40, 0x10001, v82
	v_lshrrev_b32_e32 v86, 16, v37
	v_and_b32_e32 v87, 0xffff, v37
	v_mul_u32_u24_e32 v80, 0x10001, v85
	v_mul_u32_u24_e32 v81, 0x10001, v84
	v_pk_fma_f16 v46, v46, v40, v43
	v_pk_fma_f16 v47, v47, v40, v42
	v_mul_u32_u24_e32 v82, 0x10001, v87
	v_mul_u32_u24_e32 v83, 0x10001, v86
	s_wait_dscnt 0x4
	v_pk_fma_f16 v52, v56, v80, v52
	v_pk_fma_f16 v46, v56, v81, v46
	;; [unrolled: 1-line block ×4, first 2 shown]
	v_mul_u32_u24_e32 v84, 0x10001, v89
	v_mul_u32_u24_e32 v85, 0x10001, v88
	v_pk_fma_f16 v52, v58, v82, v52
	v_pk_fma_f16 v46, v58, v83, v46
	;; [unrolled: 1-line block ×4, first 2 shown]
	v_mul_u32_u24_e32 v86, 0x10001, v91
	v_mul_u32_u24_e32 v87, 0x10001, v90
	s_wait_dscnt 0x3
	v_pk_fma_f16 v52, v60, v84, v52
	v_pk_fma_f16 v46, v60, v85, v46
	;; [unrolled: 1-line block ×4, first 2 shown]
	v_mul_u32_u24_e32 v88, 0x10001, v93
	v_mul_u32_u24_e32 v89, 0x10001, v92
	v_pk_fma_f16 v52, v62, v86, v52
	v_pk_fma_f16 v46, v62, v87, v46
	;; [unrolled: 1-line block ×4, first 2 shown]
	v_lshrrev_b32_e32 v96, 16, v48
	v_and_b32_e32 v48, 0xffff, v48
	v_mul_u32_u24_e32 v90, 0x10001, v95
	v_mul_u32_u24_e32 v91, 0x10001, v94
	s_wait_dscnt 0x2
	v_pk_fma_f16 v52, v64, v88, v52
	v_pk_fma_f16 v46, v64, v89, v46
	;; [unrolled: 1-line block ×4, first 2 shown]
	v_lshrrev_b32_e32 v97, 16, v49
	v_and_b32_e32 v49, 0xffff, v49
	v_mul_u32_u24_e32 v48, 0x10001, v48
	v_mul_u32_u24_e32 v92, 0x10001, v96
	v_pk_fma_f16 v52, v66, v90, v52
	v_pk_fma_f16 v46, v66, v91, v46
	;; [unrolled: 1-line block ×4, first 2 shown]
	v_lshrrev_b32_e32 v98, 16, v50
	v_and_b32_e32 v50, 0xffff, v50
	ds_load_2addr_b64 v[34:37], v33 offset0:128 offset1:160
	v_mul_u32_u24_e32 v49, 0x10001, v49
	v_mul_u32_u24_e32 v93, 0x10001, v97
	s_wait_dscnt 0x2
	v_pk_fma_f16 v52, v68, v48, v52
	v_pk_fma_f16 v46, v68, v92, v46
	;; [unrolled: 1-line block ×4, first 2 shown]
	v_lshrrev_b32_e32 v99, 16, v51
	v_and_b32_e32 v51, 0xffff, v51
	v_mul_u32_u24_e32 v50, 0x10001, v50
	v_mul_u32_u24_e32 v56, 0x10001, v98
	v_pk_fma_f16 v52, v70, v49, v52
	v_pk_fma_f16 v46, v70, v93, v46
	;; [unrolled: 1-line block ×4, first 2 shown]
	ds_load_2addr_b64 v[40:43], v33 offset0:192 offset1:224
	v_mul_u32_u24_e32 v51, 0x10001, v51
	v_mul_u32_u24_e32 v57, 0x10001, v99
	s_wait_dscnt 0x2
	v_pk_fma_f16 v52, v72, v50, v52
	v_pk_fma_f16 v46, v72, v56, v46
	;; [unrolled: 1-line block ×4, first 2 shown]
	s_wait_loadcnt_dscnt 0x0
	s_barrier_signal -1
	s_barrier_wait -1
	global_inv scope:SCOPE_SE
	s_load_b32 s2, s[24:25], 0x4
	v_lshrrev_b32_e32 v77, 16, v53
	v_and_b32_e32 v53, 0xffff, v53
	v_mul_u32_u24_e32 v44, 0x10001, v44
	v_mul_u32_u24_e32 v58, 0x10001, v76
	v_pk_fma_f16 v52, v74, v51, v52
	v_pk_fma_f16 v46, v74, v57, v46
	v_pk_fma_f16 v45, v75, v51, v45
	v_pk_fma_f16 v47, v75, v57, v47
	v_lshrrev_b32_e32 v78, 16, v54
	v_and_b32_e32 v54, 0xffff, v54
	v_mul_u32_u24_e32 v48, 0x10001, v53
	v_mul_u32_u24_e32 v49, 0x10001, v77
	v_pk_fma_f16 v52, v34, v44, v52
	v_pk_fma_f16 v34, v34, v58, v46
	v_pk_fma_f16 v44, v35, v44, v45
	v_pk_fma_f16 v35, v35, v58, v47
	;; [unrolled: 8-line block ×3, first 2 shown]
	v_mul_u32_u24_e32 v45, 0x10001, v55
	v_mul_u32_u24_e32 v44, 0x10001, v79
	v_pk_fma_f16 v37, v40, v50, v46
	v_pk_fma_f16 v34, v40, v51, v34
	;; [unrolled: 1-line block ×4, first 2 shown]
	s_wait_kmcnt 0x0
	s_lshl_b32 s2, s2, 5
	v_pk_fma_f16 v36, v42, v45, v37
	v_pk_fma_f16 v35, v42, v44, v34
	;; [unrolled: 1-line block ×4, first 2 shown]
	s_wait_alu 0xfffe
	s_add_co_i32 s14, s2, s14
	s_wait_alu 0xfffe
	s_cmp_ge_i32 s14, s30
	s_cbranch_scc0 .LBB16_13
; %bb.14:
	v_mov_b32_e32 v8, v16
.LBB16_15:
	v_cmp_lt_i32_e32 vcc_lo, v22, v17
	s_cmp_lg_u64 s[12:13], 0
	s_cselect_b32 s2, -1, 0
	s_cmp_eq_u32 s10, 0
	s_wait_alu 0xfffd
	v_cndmask_b32_e32 v4, v8, v22, vcc_lo
	v_cmp_lt_i32_e32 vcc_lo, v21, v17
	s_cselect_b32 s3, -1, 0
	s_wait_alu 0xfffe
	s_and_b32 s2, s3, s2
	v_lshlrev_b32_e32 v4, 2, v4
	s_wait_alu 0xfffd
	v_cndmask_b32_e32 v6, v8, v21, vcc_lo
	v_cmp_lt_i32_e32 vcc_lo, v20, v17
	ds_bpermute_b32 v5, v4, v39
	s_wait_alu 0xfffd
	v_dual_cndmask_b32 v9, v8, v20 :: v_dual_lshlrev_b32 v6, 2, v6
	v_cmp_lt_i32_e32 vcc_lo, v19, v17
	s_delay_alu instid0(VALU_DEP_2)
	v_lshlrev_b32_e32 v9, 2, v9
	s_wait_dscnt 0x0
	v_add_f32_e32 v5, v39, v5
	ds_bpermute_b32 v7, v6, v5
	s_wait_dscnt 0x0
	v_add_f32_e32 v5, v5, v7
	ds_bpermute_b32 v4, v4, v38
	;; [unrolled: 3-line block ×4, first 2 shown]
	ds_bpermute_b32 v7, v9, v4
	s_wait_alu 0xfffd
	v_cndmask_b32_e32 v9, v8, v19, vcc_lo
	v_cmp_lt_i32_e32 vcc_lo, v18, v17
	s_wait_alu 0xfffd
	v_cndmask_b32_e32 v8, v8, v18, vcc_lo
	s_wait_alu 0xfffe
	s_and_b32 vcc_lo, exec_lo, s2
	s_mov_b32 s2, 0
	s_delay_alu instid0(VALU_DEP_1)
	v_lshlrev_b32_e32 v8, 2, v8
	v_lshlrev_b32_e32 v9, 2, v9
	s_wait_dscnt 0x0
	v_dual_add_f32 v5, v5, v6 :: v_dual_add_f32 v4, v4, v7
	ds_bpermute_b32 v6, v9, v5
	ds_bpermute_b32 v7, v9, v4
	s_wait_dscnt 0x0
	v_dual_add_f32 v5, v5, v6 :: v_dual_add_f32 v6, v4, v7
	ds_bpermute_b32 v4, v8, v5
	ds_bpermute_b32 v7, v8, v6
	s_wait_dscnt 0x0
	v_dual_add_f32 v4, v5, v4 :: v_dual_add_f32 v5, v6, v7
	v_add_nc_u32_e32 v6, s33, v14
	s_wait_alu 0xfffe
	s_cbranch_vccnz .LBB16_18
; %bb.16:
	s_delay_alu instid0(VALU_DEP_2)
	v_dual_mov_b32 v8, v5 :: v_dual_add_nc_u32 v9, s33, v14
	v_mov_b32_e32 v7, v4
	s_and_not1_b32 vcc_lo, exec_lo, s2
	s_wait_alu 0xfffe
	s_cbranch_vccz .LBB16_19
; %bb.17:
	v_mov_b32_e32 v6, v9
	s_branch .LBB16_20
.LBB16_18:
                                        ; implicit-def: $vgpr9
                                        ; implicit-def: $vgpr7_vgpr8
.LBB16_19:
	s_delay_alu instid0(VALU_DEP_1) | instskip(NEXT) | instid1(VALU_DEP_1)
	v_ashrrev_i32_e32 v7, 31, v6
	v_lshlrev_b64_e32 v[7:8], 2, v[6:7]
	s_delay_alu instid0(VALU_DEP_1) | instskip(SKIP_1) | instid1(VALU_DEP_2)
	v_add_co_u32 v7, vcc_lo, s12, v7
	s_wait_alu 0xfffd
	v_add_co_ci_u32_e64 v8, null, s13, v8, vcc_lo
	global_load_b64 v[7:8], v[7:8], off
	v_max_num_f32_e32 v9, v2, v2
	s_wait_loadcnt 0x0
	v_dual_max_num_f32 v11, v3, v3 :: v_dual_max_num_f32 v12, v8, v8
	v_max_num_f32_e32 v10, v7, v7
	s_delay_alu instid0(VALU_DEP_1) | instskip(NEXT) | instid1(VALU_DEP_1)
	v_dual_max_num_f32 v9, v9, v10 :: v_dual_max_num_f32 v10, v11, v12
	v_dual_sub_f32 v2, v2, v9 :: v_dual_sub_f32 v3, v3, v10
	v_dual_sub_f32 v7, v7, v9 :: v_dual_sub_f32 v8, v8, v10
	s_delay_alu instid0(VALU_DEP_2) | instskip(NEXT) | instid1(VALU_DEP_2)
	v_dual_mul_f32 v11, 0x3fb8aa3b, v2 :: v_dual_mul_f32 v14, 0x3fb8aa3b, v3
	v_dual_mul_f32 v12, 0x3fb8aa3b, v7 :: v_dual_mul_f32 v15, 0x3fb8aa3b, v8
	v_cmp_ngt_f32_e32 vcc_lo, 0xc2ce8ed0, v2
	s_delay_alu instid0(VALU_DEP_3) | instskip(SKIP_1) | instid1(VALU_DEP_4)
	v_fma_f32 v16, 0x3fb8aa3b, v2, -v11
	v_rndne_f32_e32 v17, v11
	v_fma_f32 v18, 0x3fb8aa3b, v7, -v12
	v_fma_f32 v19, 0x3fb8aa3b, v3, -v14
	v_rndne_f32_e32 v20, v14
	s_delay_alu instid0(VALU_DEP_4) | instskip(SKIP_1) | instid1(VALU_DEP_3)
	v_dual_fmac_f32 v16, 0x32a5705f, v2 :: v_dual_sub_f32 v11, v11, v17
	v_rndne_f32_e32 v21, v12
	v_dual_fmac_f32 v19, 0x32a5705f, v3 :: v_dual_sub_f32 v14, v14, v20
	s_delay_alu instid0(VALU_DEP_3)
	v_dual_fmac_f32 v18, 0x32a5705f, v7 :: v_dual_add_f32 v11, v11, v16
	v_cvt_i32_f32_e32 v16, v17
	v_fma_f32 v22, 0x3fb8aa3b, v8, -v15
	v_rndne_f32_e32 v23, v15
	v_sub_f32_e32 v12, v12, v21
	v_exp_f32_e32 v11, v11
	v_cvt_i32_f32_e32 v17, v20
	s_delay_alu instid0(VALU_DEP_3) | instskip(NEXT) | instid1(TRANS32_DEP_1)
	v_sub_f32_e32 v15, v15, v23
	v_ldexp_f32 v11, v11, v16
	v_fmac_f32_e32 v22, 0x32a5705f, v8
	v_cvt_i32_f32_e32 v16, v23
	s_wait_alu 0xfffd
	s_delay_alu instid0(VALU_DEP_3) | instskip(NEXT) | instid1(VALU_DEP_3)
	v_cndmask_b32_e32 v11, 0, v11, vcc_lo
	v_dual_add_f32 v14, v14, v19 :: v_dual_add_f32 v15, v15, v22
	v_cmp_ngt_f32_e32 vcc_lo, 0xc2ce8ed0, v3
	s_delay_alu instid0(VALU_DEP_2) | instskip(NEXT) | instid1(VALU_DEP_2)
	v_exp_f32_e32 v14, v14
	v_exp_f32_e32 v15, v15
	s_delay_alu instid0(TRANS32_DEP_2) | instskip(SKIP_1) | instid1(VALU_DEP_1)
	v_ldexp_f32 v14, v14, v17
	s_wait_alu 0xfffd
	v_cndmask_b32_e32 v14, 0, v14, vcc_lo
	v_cmp_nlt_f32_e32 vcc_lo, 0x42b17218, v2
	s_wait_alu 0xfffd
	v_cndmask_b32_e32 v2, 0x7f800000, v11, vcc_lo
	v_cmp_nlt_f32_e32 vcc_lo, 0x42b17218, v3
	s_delay_alu instid0(TRANS32_DEP_1)
	v_ldexp_f32 v3, v15, v16
	v_add_f32_e32 v12, v12, v18
	v_cvt_i32_f32_e32 v18, v21
	s_wait_alu 0xfffd
	v_cndmask_b32_e32 v11, 0x7f800000, v14, vcc_lo
	v_cmp_ngt_f32_e32 vcc_lo, 0xc2ce8ed0, v7
	v_exp_f32_e32 v12, v12
	s_delay_alu instid0(TRANS32_DEP_1) | instskip(SKIP_1) | instid1(VALU_DEP_1)
	v_ldexp_f32 v12, v12, v18
	s_wait_alu 0xfffd
	v_cndmask_b32_e32 v12, 0, v12, vcc_lo
	v_cmp_ngt_f32_e32 vcc_lo, 0xc2ce8ed0, v8
	s_wait_alu 0xfffd
	v_cndmask_b32_e32 v3, 0, v3, vcc_lo
	v_cmp_nlt_f32_e32 vcc_lo, 0x42b17218, v7
	s_wait_alu 0xfffd
	v_cndmask_b32_e32 v7, 0x7f800000, v12, vcc_lo
	v_cmp_nlt_f32_e32 vcc_lo, 0x42b17218, v8
	s_wait_alu 0xfffd
	v_cndmask_b32_e32 v8, 0x7f800000, v3, vcc_lo
	s_delay_alu instid0(VALU_DEP_1) | instskip(NEXT) | instid1(VALU_DEP_1)
	v_fmac_f32_e32 v8, v5, v11
	v_mov_b32_e32 v5, v8
	v_cvt_f16_f32_e32 v14, v2
	v_dual_fmac_f32 v7, v4, v2 :: v_dual_mov_b32 v2, v9
	v_cvt_f16_f32_e32 v15, v11
	s_delay_alu instid0(VALU_DEP_3) | instskip(NEXT) | instid1(VALU_DEP_3)
	v_dual_mov_b32 v3, v10 :: v_dual_and_b32 v12, 0xffff, v14
	v_mov_b32_e32 v4, v7
	s_delay_alu instid0(VALU_DEP_3) | instskip(NEXT) | instid1(VALU_DEP_3)
	v_and_b32_e32 v14, 0xffff, v15
	v_mul_u32_u24_e32 v12, 0x10001, v12
	s_delay_alu instid0(VALU_DEP_2) | instskip(NEXT) | instid1(VALU_DEP_2)
	v_mul_u32_u24_e32 v9, 0x10001, v14
	v_pk_mul_f16 v36, v36, v12
	v_pk_mul_f16 v37, v37, v12
	s_delay_alu instid0(VALU_DEP_3)
	v_pk_mul_f16 v35, v35, v9
	v_pk_mul_f16 v34, v34, v9
.LBB16_20:
	s_load_b32 s1, s[0:1], 0xd4
	v_mov_b32_e32 v11, 1.0
	s_wait_kmcnt 0x0
	s_cmp_lg_u32 s1, 1
	s_cselect_b32 s3, -1, 0
	s_cmp_eq_u32 s1, 1
	s_cselect_b32 s2, -1, 0
	s_wait_alu 0xfffe
	s_and_b32 vcc_lo, exec_lo, s3
	s_wait_alu 0xfffe
	s_cbranch_vccnz .LBB16_22
; %bb.21:
	v_div_scale_f32 v9, null, v4, v4, 1.0
	s_delay_alu instid0(VALU_DEP_1) | instskip(NEXT) | instid1(TRANS32_DEP_1)
	v_rcp_f32_e32 v10, v9
	v_fma_f32 v11, -v9, v10, 1.0
	s_delay_alu instid0(VALU_DEP_1) | instskip(SKIP_1) | instid1(VALU_DEP_1)
	v_fmac_f32_e32 v10, v11, v10
	v_div_scale_f32 v11, vcc_lo, 1.0, v4, 1.0
	v_mul_f32_e32 v12, v11, v10
	s_delay_alu instid0(VALU_DEP_1) | instskip(NEXT) | instid1(VALU_DEP_1)
	v_fma_f32 v14, -v9, v12, v11
	v_fmac_f32_e32 v12, v14, v10
	s_delay_alu instid0(VALU_DEP_1) | instskip(SKIP_1) | instid1(VALU_DEP_1)
	v_fma_f32 v9, -v9, v12, v11
	s_wait_alu 0xfffd
	v_div_fmas_f32 v9, v9, v10, v12
	s_delay_alu instid0(VALU_DEP_1)
	v_div_fixup_f32 v11, v9, v4, 1.0
.LBB16_22:
	v_mad_co_u64_u32 v[9:10], null, s28, s22, v[1:2]
	v_cmp_eq_u32_e32 vcc_lo, 0, v0
	v_lshrrev_b32_e32 v4, 16, v36
	v_cvt_f32_f16_e32 v12, v37
	s_delay_alu instid0(VALU_DEP_2) | instskip(SKIP_2) | instid1(VALU_DEP_4)
	v_cvt_f32_f16_e32 v4, v4
	v_mad_co_u64_u32 v[9:10], null, v9, s23, v[6:7]
	v_lshrrev_b32_e32 v6, 16, v37
	v_mul_f32_e32 v16, v11, v12
	s_delay_alu instid0(VALU_DEP_4) | instskip(NEXT) | instid1(VALU_DEP_3)
	v_mul_f32_e32 v15, v11, v4
	v_cvt_f32_f16_e32 v6, v6
	v_mad_co_u64_u32 v[9:10], null, s1, v9, s[10:11]
	v_cvt_f32_f16_e32 v10, v36
	v_mov_b32_e32 v1, 0
	s_delay_alu instid0(VALU_DEP_4) | instskip(NEXT) | instid1(VALU_DEP_3)
	v_mul_f32_e32 v17, v11, v6
	v_mul_f32_e32 v14, v11, v10
	v_lshl_add_u32 v0, v9, 7, v13
	s_delay_alu instid0(VALU_DEP_1) | instskip(NEXT) | instid1(VALU_DEP_1)
	v_lshlrev_b64_e32 v[0:1], 2, v[0:1]
	v_add_co_u32 v0, s0, s16, v0
	s_wait_alu 0xf1ff
	s_delay_alu instid0(VALU_DEP_2)
	v_add_co_ci_u32_e64 v1, null, s17, v1, s0
	s_and_b32 s0, vcc_lo, s3
	global_store_b128 v[0:1], v[14:17], off
	s_wait_alu 0xfffe
	s_and_saveexec_b32 s3, s0
	s_cbranch_execz .LBB16_24
; %bb.23:
	v_ashrrev_i32_e32 v10, 31, v9
	v_mov_b32_e32 v6, v2
	s_delay_alu instid0(VALU_DEP_2) | instskip(NEXT) | instid1(VALU_DEP_1)
	v_lshlrev_b64_e32 v[0:1], 3, v[9:10]
	v_add_co_u32 v0, vcc_lo, s18, v0
	s_wait_alu 0xfffd
	s_delay_alu instid0(VALU_DEP_2)
	v_add_co_ci_u32_e64 v1, null, s19, v1, vcc_lo
	global_store_b64 v[0:1], v[6:7], off
.LBB16_24:
	s_wait_alu 0xfffe
	s_or_b32 exec_lo, exec_lo, s3
	v_mov_b32_e32 v1, 1.0
	s_and_not1_b32 vcc_lo, exec_lo, s2
	s_wait_alu 0xfffe
	s_cbranch_vccnz .LBB16_26
; %bb.25:
	v_div_scale_f32 v0, null, v5, v5, 1.0
	s_delay_alu instid0(VALU_DEP_1) | instskip(NEXT) | instid1(TRANS32_DEP_1)
	v_rcp_f32_e32 v1, v0
	v_fma_f32 v2, -v0, v1, 1.0
	s_delay_alu instid0(VALU_DEP_1) | instskip(SKIP_1) | instid1(VALU_DEP_1)
	v_fmac_f32_e32 v1, v2, v1
	v_div_scale_f32 v2, vcc_lo, 1.0, v5, 1.0
	v_mul_f32_e32 v4, v2, v1
	s_delay_alu instid0(VALU_DEP_1) | instskip(NEXT) | instid1(VALU_DEP_1)
	v_fma_f32 v6, -v0, v4, v2
	v_fmac_f32_e32 v4, v6, v1
	s_delay_alu instid0(VALU_DEP_1) | instskip(SKIP_1) | instid1(VALU_DEP_1)
	v_fma_f32 v0, -v0, v4, v2
	s_wait_alu 0xfffd
	v_div_fmas_f32 v0, v0, v1, v4
	s_delay_alu instid0(VALU_DEP_1)
	v_div_fixup_f32 v1, v0, v5, 1.0
.LBB16_26:
	v_dual_mov_b32 v5, 0 :: v_dual_add_nc_u32 v0, s1, v9
	v_lshrrev_b32_e32 v2, 16, v35
	v_lshrrev_b32_e32 v6, 16, v34
	v_cvt_f32_f16_e32 v7, v35
	s_delay_alu instid0(VALU_DEP_4) | instskip(SKIP_3) | instid1(VALU_DEP_4)
	v_lshl_add_u32 v4, v0, 7, v13
	v_cvt_f32_f16_e32 v11, v34
	v_cvt_f32_f16_e32 v2, v2
	;; [unrolled: 1-line block ×3, first 2 shown]
	v_lshlrev_b64_e32 v[9:10], 2, v[4:5]
	v_mul_f32_e32 v4, v1, v7
	v_mul_f32_e32 v6, v1, v11
	;; [unrolled: 1-line block ×4, first 2 shown]
	v_add_co_u32 v1, vcc_lo, s16, v9
	s_wait_alu 0xfffd
	v_add_co_ci_u32_e64 v2, null, s17, v10, vcc_lo
	global_store_b128 v[1:2], v[4:7], off
	s_and_saveexec_b32 s1, s0
	s_cbranch_execz .LBB16_28
; %bb.27:
	v_ashrrev_i32_e32 v1, 31, v0
	v_mov_b32_e32 v7, v3
	s_delay_alu instid0(VALU_DEP_2) | instskip(NEXT) | instid1(VALU_DEP_1)
	v_lshlrev_b64_e32 v[0:1], 3, v[0:1]
	v_add_co_u32 v0, vcc_lo, s18, v0
	s_wait_alu 0xfffd
	s_delay_alu instid0(VALU_DEP_2)
	v_add_co_ci_u32_e64 v1, null, s19, v1, vcc_lo
	global_store_b64 v[0:1], v[7:8], off
.LBB16_28:
	s_nop 0
	s_sendmsg sendmsg(MSG_DEALLOC_VGPRS)
	s_endpgm
	.section	.rodata,"a",@progbits
	.p2align	6, 0x0
	.amdhsa_kernel _ZL15flash_attn_tileILi192ELi128ELi1ELi8ELb0EEvPKcS1_S1_S1_S1_PKiPfP15HIP_vector_typeIfLj2EEffffjfiS5_IjLj3EEiiiiiiiiiiiliiliiiiil
		.amdhsa_group_segment_fixed_size 8192
		.amdhsa_private_segment_fixed_size 0
		.amdhsa_kernarg_size 464
		.amdhsa_user_sgpr_count 2
		.amdhsa_user_sgpr_dispatch_ptr 0
		.amdhsa_user_sgpr_queue_ptr 0
		.amdhsa_user_sgpr_kernarg_segment_ptr 1
		.amdhsa_user_sgpr_dispatch_id 0
		.amdhsa_user_sgpr_private_segment_size 0
		.amdhsa_wavefront_size32 1
		.amdhsa_uses_dynamic_stack 0
		.amdhsa_enable_private_segment 0
		.amdhsa_system_sgpr_workgroup_id_x 1
		.amdhsa_system_sgpr_workgroup_id_y 1
		.amdhsa_system_sgpr_workgroup_id_z 1
		.amdhsa_system_sgpr_workgroup_info 0
		.amdhsa_system_vgpr_workitem_id 1
		.amdhsa_next_free_vgpr 100
		.amdhsa_next_free_sgpr 43
		.amdhsa_reserve_vcc 1
		.amdhsa_float_round_mode_32 0
		.amdhsa_float_round_mode_16_64 0
		.amdhsa_float_denorm_mode_32 3
		.amdhsa_float_denorm_mode_16_64 3
		.amdhsa_fp16_overflow 0
		.amdhsa_workgroup_processor_mode 1
		.amdhsa_memory_ordered 1
		.amdhsa_forward_progress 1
		.amdhsa_inst_pref_size 67
		.amdhsa_round_robin_scheduling 0
		.amdhsa_exception_fp_ieee_invalid_op 0
		.amdhsa_exception_fp_denorm_src 0
		.amdhsa_exception_fp_ieee_div_zero 0
		.amdhsa_exception_fp_ieee_overflow 0
		.amdhsa_exception_fp_ieee_underflow 0
		.amdhsa_exception_fp_ieee_inexact 0
		.amdhsa_exception_int_div_zero 0
	.end_amdhsa_kernel
	.section	.text._ZL15flash_attn_tileILi192ELi128ELi1ELi8ELb0EEvPKcS1_S1_S1_S1_PKiPfP15HIP_vector_typeIfLj2EEffffjfiS5_IjLj3EEiiiiiiiiiiiliiliiiiil,"axG",@progbits,_ZL15flash_attn_tileILi192ELi128ELi1ELi8ELb0EEvPKcS1_S1_S1_S1_PKiPfP15HIP_vector_typeIfLj2EEffffjfiS5_IjLj3EEiiiiiiiiiiiliiliiiiil,comdat
.Lfunc_end16:
	.size	_ZL15flash_attn_tileILi192ELi128ELi1ELi8ELb0EEvPKcS1_S1_S1_S1_PKiPfP15HIP_vector_typeIfLj2EEffffjfiS5_IjLj3EEiiiiiiiiiiiliiliiiiil, .Lfunc_end16-_ZL15flash_attn_tileILi192ELi128ELi1ELi8ELb0EEvPKcS1_S1_S1_S1_PKiPfP15HIP_vector_typeIfLj2EEffffjfiS5_IjLj3EEiiiiiiiiiiiliiliiiiil
                                        ; -- End function
	.set _ZL15flash_attn_tileILi192ELi128ELi1ELi8ELb0EEvPKcS1_S1_S1_S1_PKiPfP15HIP_vector_typeIfLj2EEffffjfiS5_IjLj3EEiiiiiiiiiiiliiliiiiil.num_vgpr, 100
	.set _ZL15flash_attn_tileILi192ELi128ELi1ELi8ELb0EEvPKcS1_S1_S1_S1_PKiPfP15HIP_vector_typeIfLj2EEffffjfiS5_IjLj3EEiiiiiiiiiiiliiliiiiil.num_agpr, 0
	.set _ZL15flash_attn_tileILi192ELi128ELi1ELi8ELb0EEvPKcS1_S1_S1_S1_PKiPfP15HIP_vector_typeIfLj2EEffffjfiS5_IjLj3EEiiiiiiiiiiiliiliiiiil.numbered_sgpr, 43
	.set _ZL15flash_attn_tileILi192ELi128ELi1ELi8ELb0EEvPKcS1_S1_S1_S1_PKiPfP15HIP_vector_typeIfLj2EEffffjfiS5_IjLj3EEiiiiiiiiiiiliiliiiiil.num_named_barrier, 0
	.set _ZL15flash_attn_tileILi192ELi128ELi1ELi8ELb0EEvPKcS1_S1_S1_S1_PKiPfP15HIP_vector_typeIfLj2EEffffjfiS5_IjLj3EEiiiiiiiiiiiliiliiiiil.private_seg_size, 0
	.set _ZL15flash_attn_tileILi192ELi128ELi1ELi8ELb0EEvPKcS1_S1_S1_S1_PKiPfP15HIP_vector_typeIfLj2EEffffjfiS5_IjLj3EEiiiiiiiiiiiliiliiiiil.uses_vcc, 1
	.set _ZL15flash_attn_tileILi192ELi128ELi1ELi8ELb0EEvPKcS1_S1_S1_S1_PKiPfP15HIP_vector_typeIfLj2EEffffjfiS5_IjLj3EEiiiiiiiiiiiliiliiiiil.uses_flat_scratch, 0
	.set _ZL15flash_attn_tileILi192ELi128ELi1ELi8ELb0EEvPKcS1_S1_S1_S1_PKiPfP15HIP_vector_typeIfLj2EEffffjfiS5_IjLj3EEiiiiiiiiiiiliiliiiiil.has_dyn_sized_stack, 0
	.set _ZL15flash_attn_tileILi192ELi128ELi1ELi8ELb0EEvPKcS1_S1_S1_S1_PKiPfP15HIP_vector_typeIfLj2EEffffjfiS5_IjLj3EEiiiiiiiiiiiliiliiiiil.has_recursion, 0
	.set _ZL15flash_attn_tileILi192ELi128ELi1ELi8ELb0EEvPKcS1_S1_S1_S1_PKiPfP15HIP_vector_typeIfLj2EEffffjfiS5_IjLj3EEiiiiiiiiiiiliiliiiiil.has_indirect_call, 0
	.section	.AMDGPU.csdata,"",@progbits
; Kernel info:
; codeLenInByte = 8532
; TotalNumSgprs: 45
; NumVgprs: 100
; ScratchSize: 0
; MemoryBound: 0
; FloatMode: 240
; IeeeMode: 1
; LDSByteSize: 8192 bytes/workgroup (compile time only)
; SGPRBlocks: 0
; VGPRBlocks: 12
; NumSGPRsForWavesPerEU: 45
; NumVGPRsForWavesPerEU: 100
; Occupancy: 12
; WaveLimiterHint : 1
; COMPUTE_PGM_RSRC2:SCRATCH_EN: 0
; COMPUTE_PGM_RSRC2:USER_SGPR: 2
; COMPUTE_PGM_RSRC2:TRAP_HANDLER: 0
; COMPUTE_PGM_RSRC2:TGID_X_EN: 1
; COMPUTE_PGM_RSRC2:TGID_Y_EN: 1
; COMPUTE_PGM_RSRC2:TGID_Z_EN: 1
; COMPUTE_PGM_RSRC2:TIDIG_COMP_CNT: 1
	.section	.text._ZL33flash_attn_stream_k_fixup_uniformILi128ELi1ELi8EEvPfPK15HIP_vector_typeIfLj2EEiiiiiiS1_IjLj3EES5_S5_,"axG",@progbits,_ZL33flash_attn_stream_k_fixup_uniformILi128ELi1ELi8EEvPfPK15HIP_vector_typeIfLj2EEiiiiiiS1_IjLj3EES5_S5_,comdat
	.globl	_ZL33flash_attn_stream_k_fixup_uniformILi128ELi1ELi8EEvPfPK15HIP_vector_typeIfLj2EEiiiiiiS1_IjLj3EES5_S5_ ; -- Begin function _ZL33flash_attn_stream_k_fixup_uniformILi128ELi1ELi8EEvPfPK15HIP_vector_typeIfLj2EEiiiiiiS1_IjLj3EES5_S5_
	.p2align	8
	.type	_ZL33flash_attn_stream_k_fixup_uniformILi128ELi1ELi8EEvPfPK15HIP_vector_typeIfLj2EEiiiiiiS1_IjLj3EES5_S5_,@function
_ZL33flash_attn_stream_k_fixup_uniformILi128ELi1ELi8EEvPfPK15HIP_vector_typeIfLj2EEiiiiiiS1_IjLj3EES5_S5_: ; @_ZL33flash_attn_stream_k_fixup_uniformILi128ELi1ELi8EEvPfPK15HIP_vector_typeIfLj2EEiiiiiiS1_IjLj3EES5_S5_
; %bb.0:
	s_clause 0x1
	s_load_b256 s[4:11], s[0:1], 0x1c
	s_load_b128 s[16:19], s[0:1], 0x3c
	s_wait_kmcnt 0x0
	s_mul_hi_u32 s2, s7, ttmp9
	s_delay_alu instid0(SALU_CYCLE_1) | instskip(NEXT) | instid1(SALU_CYCLE_1)
	s_add_co_i32 s2, ttmp9, s2
	s_lshr_b32 s12, s2, s8
	s_delay_alu instid0(SALU_CYCLE_1) | instskip(SKIP_2) | instid1(SALU_CYCLE_1)
	s_mul_i32 s2, s12, s9
	s_load_b64 s[8:9], s[0:1], 0x10
	s_sub_co_i32 s2, ttmp9, s2
	s_mul_hi_u32 s3, s2, s10
	s_and_b32 s10, ttmp7, 0xffff
	s_add_co_i32 s3, s2, s3
	s_delay_alu instid0(SALU_CYCLE_1) | instskip(NEXT) | instid1(SALU_CYCLE_1)
	s_lshr_b32 s11, s3, s11
	s_mul_i32 s3, s11, s16
	s_delay_alu instid0(SALU_CYCLE_1) | instskip(NEXT) | instid1(SALU_CYCLE_1)
	s_sub_co_i32 s2, s2, s3
	s_mul_hi_u32 s3, s2, s17
	s_delay_alu instid0(SALU_CYCLE_1) | instskip(NEXT) | instid1(SALU_CYCLE_1)
	s_add_co_i32 s3, s2, s3
	s_lshr_b32 s3, s3, s18
	s_delay_alu instid0(SALU_CYCLE_1)
	s_mul_i32 s7, s3, s19
	s_lshl_b32 s14, s3, 3
	s_sub_co_i32 s13, s2, s7
	s_lshr_b32 s7, ttmp7, 16
	s_add_co_i32 s13, s13, s10
	s_wait_kmcnt 0x0
	s_cmp_lt_i32 s13, s8
	s_cselect_b32 s2, -1, 0
	s_add_co_i32 s14, s14, s7
	s_delay_alu instid0(SALU_CYCLE_1) | instskip(SKIP_1) | instid1(SALU_CYCLE_1)
	s_cmp_lt_i32 s14, s5
	s_cselect_b32 s3, -1, 0
	s_and_b32 s2, s2, s3
	s_delay_alu instid0(SALU_CYCLE_1)
	s_and_not1_b32 vcc_lo, exec_lo, s2
	s_cbranch_vccnz .LBB17_6
; %bb.1:
	s_mul_i32 s12, s12, s8
	s_mul_i32 s11, s11, s5
	s_add_co_i32 s5, s13, s12
	s_load_b128 s[0:3], s[0:1], 0x0
	s_add_co_i32 s8, s14, s11
	s_mul_i32 s5, s5, s9
	s_delay_alu instid0(SALU_CYCLE_1) | instskip(NEXT) | instid1(SALU_CYCLE_1)
	s_add_co_i32 s8, s8, s5
	v_lshl_or_b32 v1, s8, 7, v0
	s_mul_i32 s8, s6, ttmp9
	s_wait_alu 0xfffe
	s_add_co_i32 s9, s8, s6
	s_delay_alu instid0(VALU_DEP_1) | instskip(SKIP_2) | instid1(VALU_DEP_1)
	v_ashrrev_i32_e32 v2, 31, v1
	s_wait_alu 0xfffe
	s_add_co_i32 s5, s9, -2
	v_lshlrev_b64_e32 v[1:2], 2, v[1:2]
	s_wait_kmcnt 0x0
	s_delay_alu instid0(VALU_DEP_1) | instskip(NEXT) | instid1(VALU_DEP_1)
	v_add_co_u32 v1, vcc_lo, s0, v1
	v_add_co_ci_u32_e64 v2, null, s1, v2, vcc_lo
	s_add_co_i32 s0, s10, s9
	s_wait_alu 0xfffe
	s_lshl_b32 s0, s0, 3
	global_load_b32 v5, v[1:2], off
	s_wait_alu 0xfffe
	s_add_co_i32 s0, s0, s7
	s_wait_alu 0xfffe
	s_add_co_i32 s0, s0, -8
	s_wait_alu 0xfffe
	s_ashr_i32 s1, s0, 31
	s_wait_alu 0xfffe
	s_lshl_b64 s[0:1], s[0:1], 3
	s_cmp_lt_i32 s5, s8
	s_wait_alu 0xfffe
	s_add_nc_u64 s[0:1], s[2:3], s[0:1]
	s_load_b32 s11, s[0:1], 0x4
	s_cbranch_scc1 .LBB17_4
; %bb.2:
	s_load_b32 s0, s[0:1], 0x0
	s_add_co_i32 s1, ttmp9, 1
	s_lshl_b32 s5, s7, 7
	s_wait_alu 0xfffe
	s_mul_i32 s1, s6, s1
	s_lshl_b32 s6, s10, 10
	s_wait_alu 0xfffe
	s_lshl_b32 s1, s1, 10
	s_add_co_i32 s5, s5, s6
	s_lshl_b32 s12, s4, 5
	s_wait_alu 0xfffe
	s_add_co_i32 s5, s5, s1
	s_add_co_i32 s1, s10, s4
	v_or_b32_e32 v0, s5, v0
	s_wait_alu 0xfffe
	s_add_co_i32 s1, s1, s9
	s_ashr_i32 s13, s12, 31
	s_wait_alu 0xfffe
	s_lshl_b32 s1, s1, 3
	s_wait_kmcnt 0x0
	v_dual_mov_b32 v6, s11 :: v_dual_add_nc_u32 v3, 0xfffff800, v0
	s_lshl_b64 s[4:5], s[12:13], 2
	s_wait_alu 0xfffe
	s_add_co_i32 s6, s7, s1
	s_add_nc_u64 s[4:5], s[2:3], s[4:5]
	s_add_co_i32 s1, s9, -1
	s_add_co_i32 s6, s6, -16
.LBB17_3:                               ; =>This Inner Loop Header: Depth=1
	v_ashrrev_i32_e32 v4, 31, v3
	s_ashr_i32 s7, s6, 31
	v_mov_b32_e32 v10, v6
	s_lshl_b64 s[10:11], s[6:7], 3
	s_wait_loadcnt 0x0
	v_mov_b32_e32 v9, v5
	v_lshlrev_b64_e32 v[7:8], 2, v[3:4]
	s_wait_alu 0xfffe
	s_add_nc_u64 s[10:11], s[2:3], s[10:11]
	v_max_num_f32_e64 v4, s0, s0
	s_load_b64 s[10:11], s[10:11], 0x0
	v_add_nc_u32_e32 v3, 0xfffffc00, v3
	v_add_co_u32 v7, vcc_lo, s4, v7
	s_wait_alu 0xfffd
	v_add_co_ci_u32_e64 v8, null, s5, v8, vcc_lo
	v_readfirstlane_b32 s7, v4
	global_load_b32 v0, v[7:8], off
	s_wait_kmcnt 0x0
	v_max_num_f32_e64 v4, s10, s10
	s_delay_alu instid0(VALU_DEP_1) | instskip(SKIP_1) | instid1(SALU_CYCLE_3)
	v_readfirstlane_b32 s9, v4
	s_max_num_f32 s7, s7, s9
	s_sub_f32 s0, s0, s7
	s_sub_f32 s9, s10, s7
	s_wait_alu 0xfffe
	s_delay_alu instid0(SALU_CYCLE_1) | instskip(NEXT) | instid1(SALU_CYCLE_1)
	s_mul_f32 s10, s0, 0x3fb8aa3b
	s_mul_f32 s12, s9, 0x3fb8aa3b
	s_wait_alu 0xfffe
	s_delay_alu instid0(SALU_CYCLE_1)
	s_xor_b32 s13, s10, 0x80000000
	s_rndne_f32 s14, s10
	s_fmamk_f32 s13, s0, 0x3fb8aa3b, s13
	s_cmp_nlt_f32 s0, 0xc2ce8ed0
	s_rndne_f32 s15, s12
	s_wait_alu 0xfffe
	s_sub_f32 s10, s10, s14
	s_fmamk_f32 s13, s0, 0x32a5705f, s13
	s_cvt_i32_f32 s14, s14
	s_cselect_b32 vcc_lo, -1, 0
	s_cmp_ngt_f32 s0, 0x42b17218
	s_wait_alu 0xfffe
	s_add_f32 s10, s10, s13
	s_sub_f32 s13, s12, s15
	s_wait_alu 0xfffe
	s_delay_alu instid0(SALU_CYCLE_1) | instskip(SKIP_1) | instid1(TRANS32_DEP_1)
	v_s_exp_f32 s10, s10
	s_wait_alu 0xf1ff
	v_ldexp_f32 v4, s10, s14
	s_cvt_i32_f32 s10, s15
	s_delay_alu instid0(VALU_DEP_1) | instskip(SKIP_3) | instid1(VALU_DEP_1)
	v_cndmask_b32_e32 v4, 0, v4, vcc_lo
	s_cselect_b32 vcc_lo, -1, 0
	s_cmp_ge_f32 s0, 0xc1a00000
	s_wait_alu 0xfffe
	v_cndmask_b32_e32 v4, 0x7f800000, v4, vcc_lo
	s_cselect_b32 vcc_lo, -1, 0
	s_xor_b32 s0, s12, 0x80000000
	s_cmp_nlt_f32 s9, 0xc2ce8ed0
	s_wait_alu 0xfffe
	s_fmamk_f32 s0, s9, 0x3fb8aa3b, s0
	s_wait_alu 0xfffe
	s_delay_alu instid0(SALU_CYCLE_2) | instskip(SKIP_1) | instid1(SALU_CYCLE_2)
	s_fmamk_f32 s0, s9, 0x32a5705f, s0
	s_wait_alu 0xfffe
	s_add_f32 s0, s13, s0
	s_wait_alu 0xfffe
	s_delay_alu instid0(SALU_CYCLE_2) | instskip(SKIP_1) | instid1(TRANS32_DEP_1)
	v_s_exp_f32 s0, s0
	s_wait_alu 0xf1ff
	v_ldexp_f32 v7, s0, s10
	s_cselect_b32 s0, -1, 0
	s_cmp_ngt_f32 s9, 0x42b17218
	s_wait_alu 0xfffe
	s_delay_alu instid0(VALU_DEP_1) | instskip(SKIP_3) | instid1(VALU_DEP_1)
	v_cndmask_b32_e64 v7, 0, v7, s0
	s_cselect_b32 s0, -1, 0
	s_cmp_ge_f32 s9, 0xc1a00000
	s_wait_alu 0xfffe
	v_cndmask_b32_e64 v7, 0x7f800000, v7, s0
	s_cselect_b32 s0, -1, 0
	s_add_co_i32 s1, s1, -1
	s_add_co_i32 s6, s6, -8
	s_wait_alu 0xfffe
	s_cmp_le_i32 s1, s8
	v_cndmask_b32_e64 v7, 0, v7, s0
	s_mov_b32 s0, s7
	s_wait_loadcnt 0x0
	s_delay_alu instid0(VALU_DEP_1) | instskip(NEXT) | instid1(VALU_DEP_1)
	v_dual_mul_f32 v5, v0, v7 :: v_dual_cndmask_b32 v4, 0, v4
	v_dual_mul_f32 v8, s11, v7 :: v_dual_fmac_f32 v5, v9, v4
	s_delay_alu instid0(VALU_DEP_1) | instskip(NEXT) | instid1(VALU_DEP_1)
	v_mov_b32_e32 v6, v8
	v_fmac_f32_e32 v6, v10, v4
	s_cbranch_scc0 .LBB17_3
	s_branch .LBB17_5
.LBB17_4:
	s_wait_kmcnt 0x0
	v_mov_b32_e32 v6, s11
.LBB17_5:
	s_wait_loadcnt 0x0
	s_delay_alu instid0(VALU_DEP_1) | instskip(NEXT) | instid1(VALU_DEP_1)
	v_div_scale_f32 v0, null, v6, v6, v5
	v_rcp_f32_e32 v3, v0
	s_delay_alu instid0(TRANS32_DEP_1) | instskip(NEXT) | instid1(VALU_DEP_1)
	v_fma_f32 v4, -v0, v3, 1.0
	v_fmac_f32_e32 v3, v4, v3
	v_div_scale_f32 v4, vcc_lo, v5, v6, v5
	s_delay_alu instid0(VALU_DEP_1) | instskip(NEXT) | instid1(VALU_DEP_1)
	v_mul_f32_e32 v7, v4, v3
	v_fma_f32 v8, -v0, v7, v4
	s_delay_alu instid0(VALU_DEP_1) | instskip(NEXT) | instid1(VALU_DEP_1)
	v_fmac_f32_e32 v7, v8, v3
	v_fma_f32 v0, -v0, v7, v4
	s_wait_alu 0xfffd
	s_delay_alu instid0(VALU_DEP_1) | instskip(NEXT) | instid1(VALU_DEP_1)
	v_div_fmas_f32 v0, v0, v3, v7
	v_div_fixup_f32 v0, v0, v6, v5
	global_store_b32 v[1:2], v0, off
.LBB17_6:
	s_endpgm
	.section	.rodata,"a",@progbits
	.p2align	6, 0x0
	.amdhsa_kernel _ZL33flash_attn_stream_k_fixup_uniformILi128ELi1ELi8EEvPfPK15HIP_vector_typeIfLj2EEiiiiiiS1_IjLj3EES5_S5_
		.amdhsa_group_segment_fixed_size 0
		.amdhsa_private_segment_fixed_size 0
		.amdhsa_kernarg_size 76
		.amdhsa_user_sgpr_count 2
		.amdhsa_user_sgpr_dispatch_ptr 0
		.amdhsa_user_sgpr_queue_ptr 0
		.amdhsa_user_sgpr_kernarg_segment_ptr 1
		.amdhsa_user_sgpr_dispatch_id 0
		.amdhsa_user_sgpr_private_segment_size 0
		.amdhsa_wavefront_size32 1
		.amdhsa_uses_dynamic_stack 0
		.amdhsa_enable_private_segment 0
		.amdhsa_system_sgpr_workgroup_id_x 1
		.amdhsa_system_sgpr_workgroup_id_y 1
		.amdhsa_system_sgpr_workgroup_id_z 1
		.amdhsa_system_sgpr_workgroup_info 0
		.amdhsa_system_vgpr_workitem_id 0
		.amdhsa_next_free_vgpr 11
		.amdhsa_next_free_sgpr 20
		.amdhsa_reserve_vcc 1
		.amdhsa_float_round_mode_32 0
		.amdhsa_float_round_mode_16_64 0
		.amdhsa_float_denorm_mode_32 3
		.amdhsa_float_denorm_mode_16_64 3
		.amdhsa_fp16_overflow 0
		.amdhsa_workgroup_processor_mode 1
		.amdhsa_memory_ordered 1
		.amdhsa_forward_progress 1
		.amdhsa_inst_pref_size 9
		.amdhsa_round_robin_scheduling 0
		.amdhsa_exception_fp_ieee_invalid_op 0
		.amdhsa_exception_fp_denorm_src 0
		.amdhsa_exception_fp_ieee_div_zero 0
		.amdhsa_exception_fp_ieee_overflow 0
		.amdhsa_exception_fp_ieee_underflow 0
		.amdhsa_exception_fp_ieee_inexact 0
		.amdhsa_exception_int_div_zero 0
	.end_amdhsa_kernel
	.section	.text._ZL33flash_attn_stream_k_fixup_uniformILi128ELi1ELi8EEvPfPK15HIP_vector_typeIfLj2EEiiiiiiS1_IjLj3EES5_S5_,"axG",@progbits,_ZL33flash_attn_stream_k_fixup_uniformILi128ELi1ELi8EEvPfPK15HIP_vector_typeIfLj2EEiiiiiiS1_IjLj3EES5_S5_,comdat
.Lfunc_end17:
	.size	_ZL33flash_attn_stream_k_fixup_uniformILi128ELi1ELi8EEvPfPK15HIP_vector_typeIfLj2EEiiiiiiS1_IjLj3EES5_S5_, .Lfunc_end17-_ZL33flash_attn_stream_k_fixup_uniformILi128ELi1ELi8EEvPfPK15HIP_vector_typeIfLj2EEiiiiiiS1_IjLj3EES5_S5_
                                        ; -- End function
	.set _ZL33flash_attn_stream_k_fixup_uniformILi128ELi1ELi8EEvPfPK15HIP_vector_typeIfLj2EEiiiiiiS1_IjLj3EES5_S5_.num_vgpr, 11
	.set _ZL33flash_attn_stream_k_fixup_uniformILi128ELi1ELi8EEvPfPK15HIP_vector_typeIfLj2EEiiiiiiS1_IjLj3EES5_S5_.num_agpr, 0
	.set _ZL33flash_attn_stream_k_fixup_uniformILi128ELi1ELi8EEvPfPK15HIP_vector_typeIfLj2EEiiiiiiS1_IjLj3EES5_S5_.numbered_sgpr, 20
	.set _ZL33flash_attn_stream_k_fixup_uniformILi128ELi1ELi8EEvPfPK15HIP_vector_typeIfLj2EEiiiiiiS1_IjLj3EES5_S5_.num_named_barrier, 0
	.set _ZL33flash_attn_stream_k_fixup_uniformILi128ELi1ELi8EEvPfPK15HIP_vector_typeIfLj2EEiiiiiiS1_IjLj3EES5_S5_.private_seg_size, 0
	.set _ZL33flash_attn_stream_k_fixup_uniformILi128ELi1ELi8EEvPfPK15HIP_vector_typeIfLj2EEiiiiiiS1_IjLj3EES5_S5_.uses_vcc, 1
	.set _ZL33flash_attn_stream_k_fixup_uniformILi128ELi1ELi8EEvPfPK15HIP_vector_typeIfLj2EEiiiiiiS1_IjLj3EES5_S5_.uses_flat_scratch, 0
	.set _ZL33flash_attn_stream_k_fixup_uniformILi128ELi1ELi8EEvPfPK15HIP_vector_typeIfLj2EEiiiiiiS1_IjLj3EES5_S5_.has_dyn_sized_stack, 0
	.set _ZL33flash_attn_stream_k_fixup_uniformILi128ELi1ELi8EEvPfPK15HIP_vector_typeIfLj2EEiiiiiiS1_IjLj3EES5_S5_.has_recursion, 0
	.set _ZL33flash_attn_stream_k_fixup_uniformILi128ELi1ELi8EEvPfPK15HIP_vector_typeIfLj2EEiiiiiiS1_IjLj3EES5_S5_.has_indirect_call, 0
	.section	.AMDGPU.csdata,"",@progbits
; Kernel info:
; codeLenInByte = 1120
; TotalNumSgprs: 22
; NumVgprs: 11
; ScratchSize: 0
; MemoryBound: 0
; FloatMode: 240
; IeeeMode: 1
; LDSByteSize: 0 bytes/workgroup (compile time only)
; SGPRBlocks: 0
; VGPRBlocks: 1
; NumSGPRsForWavesPerEU: 22
; NumVGPRsForWavesPerEU: 11
; Occupancy: 16
; WaveLimiterHint : 0
; COMPUTE_PGM_RSRC2:SCRATCH_EN: 0
; COMPUTE_PGM_RSRC2:USER_SGPR: 2
; COMPUTE_PGM_RSRC2:TRAP_HANDLER: 0
; COMPUTE_PGM_RSRC2:TGID_X_EN: 1
; COMPUTE_PGM_RSRC2:TGID_Y_EN: 1
; COMPUTE_PGM_RSRC2:TGID_Z_EN: 1
; COMPUTE_PGM_RSRC2:TIDIG_COMP_CNT: 0
	.section	.text._ZL33flash_attn_stream_k_fixup_generalILi128ELi1ELi8EEvPfPK15HIP_vector_typeIfLj2EEiiiiS1_IjLj3EES5_S5_S5_,"axG",@progbits,_ZL33flash_attn_stream_k_fixup_generalILi128ELi1ELi8EEvPfPK15HIP_vector_typeIfLj2EEiiiiS1_IjLj3EES5_S5_S5_,comdat
	.globl	_ZL33flash_attn_stream_k_fixup_generalILi128ELi1ELi8EEvPfPK15HIP_vector_typeIfLj2EEiiiiS1_IjLj3EES5_S5_S5_ ; -- Begin function _ZL33flash_attn_stream_k_fixup_generalILi128ELi1ELi8EEvPfPK15HIP_vector_typeIfLj2EEiiiiS1_IjLj3EES5_S5_S5_
	.p2align	8
	.type	_ZL33flash_attn_stream_k_fixup_generalILi128ELi1ELi8EEvPfPK15HIP_vector_typeIfLj2EEiiiiS1_IjLj3EES5_S5_S5_,@function
_ZL33flash_attn_stream_k_fixup_generalILi128ELi1ELi8EEvPfPK15HIP_vector_typeIfLj2EEiiiiS1_IjLj3EES5_S5_S5_: ; @_ZL33flash_attn_stream_k_fixup_generalILi128ELi1ELi8EEvPfPK15HIP_vector_typeIfLj2EEiiiiS1_IjLj3EES5_S5_S5_
; %bb.0:
	s_clause 0x1
	s_load_b128 s[4:7], s[0:1], 0x10
	s_load_b32 s16, s[0:1], 0x50
	s_mov_b32 s2, ttmp9
	s_ashr_i32 s3, ttmp9, 31
	s_mov_b32 s17, 0
	s_delay_alu instid0(SALU_CYCLE_1) | instskip(SKIP_3) | instid1(SALU_CYCLE_1)
	s_mov_b32 s8, s17
	s_wait_kmcnt 0x0
	s_ashr_i32 s19, s7, 31
	s_mov_b32 s18, s7
	s_mul_u64 s[2:3], s[18:19], s[2:3]
	s_delay_alu instid0(SALU_CYCLE_1) | instskip(NEXT) | instid1(SALU_CYCLE_1)
	s_mov_b32 s9, s3
	s_cmp_lg_u64 s[8:9], 0
	s_cbranch_scc0 .LBB18_21
; %bb.1:
	s_add_nc_u64 s[8:9], s[16:17], 0
	s_mov_b32 s15, s17
	s_xor_b64 s[8:9], s[8:9], 0
	s_mov_b32 s23, s17
	s_cvt_f32_u32 s7, s8
	s_cvt_f32_u32 s10, s9
	s_sub_nc_u64 s[12:13], 0, s[8:9]
	s_delay_alu instid0(SALU_CYCLE_2) | instskip(NEXT) | instid1(SALU_CYCLE_3)
	s_fmamk_f32 s7, s10, 0x4f800000, s7
	v_s_rcp_f32 s7, s7
	s_delay_alu instid0(TRANS32_DEP_1) | instskip(SKIP_1) | instid1(SALU_CYCLE_2)
	s_mul_f32 s7, s7, 0x5f7ffffc
	s_wait_alu 0xfffe
	s_mul_f32 s10, s7, 0x2f800000
	s_delay_alu instid0(SALU_CYCLE_3) | instskip(NEXT) | instid1(SALU_CYCLE_3)
	s_trunc_f32 s10, s10
	s_fmamk_f32 s7, s10, 0xcf800000, s7
	s_cvt_u32_f32 s11, s10
	s_wait_alu 0xfffe
	s_delay_alu instid0(SALU_CYCLE_1) | instskip(NEXT) | instid1(SALU_CYCLE_3)
	s_cvt_u32_f32 s10, s7
	s_mul_u64 s[20:21], s[12:13], s[10:11]
	s_delay_alu instid0(SALU_CYCLE_1)
	s_mul_hi_u32 s25, s10, s21
	s_mul_i32 s24, s10, s21
	s_mul_hi_u32 s14, s10, s20
	s_mul_i32 s22, s11, s20
	s_add_nc_u64 s[14:15], s[14:15], s[24:25]
	s_mul_hi_u32 s7, s11, s20
	s_mul_hi_u32 s26, s11, s21
	s_add_co_u32 s14, s14, s22
	s_wait_alu 0xfffe
	s_add_co_ci_u32 s22, s15, s7
	s_mul_i32 s20, s11, s21
	s_add_co_ci_u32 s21, s26, 0
	s_delay_alu instid0(SALU_CYCLE_1)
	s_add_nc_u64 s[14:15], s[22:23], s[20:21]
	s_mov_b32 s21, s17
	s_add_co_u32 s10, s10, s14
	s_cselect_b32 s7, -1, 0
	s_wait_alu 0xfffe
	s_cmp_lg_u32 s7, 0
	s_add_co_ci_u32 s11, s11, s15
	s_mov_b32 s15, s17
	s_mul_u64 s[12:13], s[12:13], s[10:11]
	s_delay_alu instid0(SALU_CYCLE_1)
	s_mul_hi_u32 s23, s10, s13
	s_mul_i32 s22, s10, s13
	s_mul_hi_u32 s14, s10, s12
	s_mul_i32 s20, s11, s12
	s_add_nc_u64 s[14:15], s[14:15], s[22:23]
	s_mul_hi_u32 s7, s11, s12
	s_mul_hi_u32 s24, s11, s13
	s_mul_i32 s12, s11, s13
	s_add_co_u32 s13, s14, s20
	s_wait_alu 0xfffe
	s_add_co_ci_u32 s20, s15, s7
	s_add_co_ci_u32 s13, s24, 0
	s_mov_b32 s15, s17
	s_add_nc_u64 s[12:13], s[20:21], s[12:13]
	s_delay_alu instid0(SALU_CYCLE_1) | instskip(SKIP_1) | instid1(SALU_CYCLE_1)
	s_add_co_u32 s7, s10, s12
	s_cselect_b32 s10, -1, 0
	s_cmp_lg_u32 s10, 0
	s_add_co_ci_u32 s20, s11, s13
	s_ashr_i32 s10, s3, 31
	s_delay_alu instid0(SALU_CYCLE_1) | instskip(NEXT) | instid1(SALU_CYCLE_1)
	s_mov_b32 s11, s10
	s_add_nc_u64 s[12:13], s[2:3], s[10:11]
	s_delay_alu instid0(SALU_CYCLE_1) | instskip(NEXT) | instid1(SALU_CYCLE_1)
	s_xor_b64 s[12:13], s[12:13], s[10:11]
	s_mul_hi_u32 s23, s12, s20
	s_mul_i32 s22, s12, s20
	s_wait_alu 0xfffe
	s_mul_hi_u32 s14, s12, s7
	s_mul_hi_u32 s24, s13, s7
	s_mul_i32 s7, s13, s7
	s_add_nc_u64 s[14:15], s[14:15], s[22:23]
	s_mul_hi_u32 s3, s13, s20
	s_wait_alu 0xfffe
	s_add_co_u32 s7, s14, s7
	s_mul_i32 s22, s13, s20
	s_add_co_ci_u32 s20, s15, s24
	s_add_co_ci_u32 s23, s3, 0
	s_delay_alu instid0(SALU_CYCLE_1) | instskip(NEXT) | instid1(SALU_CYCLE_1)
	s_add_nc_u64 s[14:15], s[20:21], s[22:23]
	s_mul_u64 s[20:21], s[8:9], s[14:15]
	s_delay_alu instid0(SALU_CYCLE_1)
	s_sub_co_u32 s3, s12, s20
	s_cselect_b32 s7, -1, 0
	s_sub_co_i32 s12, s13, s21
	s_wait_alu 0xfffe
	s_cmp_lg_u32 s7, 0
	s_sub_co_ci_u32 s12, s12, s9
	s_sub_co_u32 s20, s3, s8
	s_cselect_b32 s22, -1, 0
	s_delay_alu instid0(SALU_CYCLE_1) | instskip(SKIP_2) | instid1(SALU_CYCLE_1)
	s_cmp_lg_u32 s22, 0
	s_add_nc_u64 s[22:23], s[14:15], 1
	s_sub_co_ci_u32 s12, s12, 0
	s_cmp_ge_u32 s12, s9
	s_cselect_b32 s24, -1, 0
	s_cmp_ge_u32 s20, s8
	s_cselect_b32 s20, -1, 0
	s_cmp_eq_u32 s12, s9
	s_cselect_b32 s12, s20, s24
	s_add_nc_u64 s[24:25], s[14:15], 2
	s_cmp_lg_u32 s12, 0
	s_cselect_b32 s12, s24, s22
	s_cselect_b32 s20, s25, s23
	s_cmp_lg_u32 s7, 0
	s_sub_co_ci_u32 s7, s13, s21
	s_wait_alu 0xfffe
	s_cmp_ge_u32 s7, s9
	s_cselect_b32 s13, -1, 0
	s_cmp_ge_u32 s3, s8
	s_cselect_b32 s3, -1, 0
	s_cmp_eq_u32 s7, s9
	s_cselect_b32 s3, s3, s13
	s_delay_alu instid0(SALU_CYCLE_1) | instskip(SKIP_4) | instid1(SALU_CYCLE_1)
	s_cmp_lg_u32 s3, 0
	s_mov_b32 s3, s17
	s_cselect_b32 s9, s20, s15
	s_cselect_b32 s8, s12, s14
	s_xor_b64 s[10:11], s[10:11], 0
	s_xor_b64 s[8:9], s[8:9], s[10:11]
	s_delay_alu instid0(SALU_CYCLE_1)
	s_sub_nc_u64 s[20:21], s[8:9], s[10:11]
	s_and_not1_b32 vcc_lo, exec_lo, s3
	s_cbranch_vccnz .LBB18_3
.LBB18_2:
	v_cvt_f32_u32_e32 v1, s16
	s_sub_co_i32 s7, 0, s16
	s_delay_alu instid0(VALU_DEP_1) | instskip(NEXT) | instid1(TRANS32_DEP_1)
	v_rcp_iflag_f32_e32 v1, v1
	v_mul_f32_e32 v1, 0x4f7ffffe, v1
	s_delay_alu instid0(VALU_DEP_1) | instskip(NEXT) | instid1(VALU_DEP_1)
	v_cvt_u32_f32_e32 v1, v1
	v_readfirstlane_b32 s3, v1
	s_wait_alu 0xfffe
	s_mul_i32 s7, s7, s3
	s_wait_alu 0xfffe
	s_mul_hi_u32 s7, s3, s7
	s_wait_alu 0xfffe
	s_add_co_i32 s3, s3, s7
	s_delay_alu instid0(SALU_CYCLE_1) | instskip(NEXT) | instid1(SALU_CYCLE_1)
	s_mul_hi_u32 s3, s2, s3
	s_mul_i32 s7, s3, s16
	s_wait_alu 0xfffe
	s_sub_co_i32 s2, s2, s7
	s_add_co_i32 s7, s3, 1
	s_sub_co_i32 s8, s2, s16
	s_cmp_ge_u32 s2, s16
	s_wait_alu 0xfffe
	s_cselect_b32 s3, s7, s3
	s_cselect_b32 s2, s8, s2
	s_add_co_i32 s7, s3, 1
	s_cmp_ge_u32 s2, s16
	s_wait_alu 0xfffe
	s_cselect_b32 s20, s7, s3
.LBB18_3:
	s_add_co_i32 s2, ttmp9, 1
	s_mov_b32 s8, 0
	s_ashr_i32 s3, s2, 31
	s_delay_alu instid0(SALU_CYCLE_1) | instskip(NEXT) | instid1(SALU_CYCLE_1)
	s_mul_u64 s[2:3], s[18:19], s[2:3]
	s_mov_b32 s9, s3
	s_delay_alu instid0(SALU_CYCLE_1)
	s_cmp_lg_u64 s[8:9], 0
	s_cbranch_scc0 .LBB18_22
; %bb.4:
	s_add_nc_u64 s[10:11], s[16:17], 0
	s_mov_b32 s23, s8
	s_xor_b64 s[10:11], s[10:11], 0
	s_mov_b32 s27, s8
	s_cvt_f32_u32 s7, s10
	s_cvt_f32_u32 s9, s11
	s_sub_nc_u64 s[14:15], 0, s[10:11]
	s_wait_alu 0xfffe
	s_delay_alu instid0(SALU_CYCLE_1) | instskip(SKIP_1) | instid1(SALU_CYCLE_2)
	s_fmamk_f32 s7, s9, 0x4f800000, s7
	s_wait_alu 0xfffe
	v_s_rcp_f32 s7, s7
	s_delay_alu instid0(TRANS32_DEP_1) | instskip(SKIP_1) | instid1(SALU_CYCLE_2)
	s_mul_f32 s7, s7, 0x5f7ffffc
	s_wait_alu 0xfffe
	s_mul_f32 s9, s7, 0x2f800000
	s_delay_alu instid0(SALU_CYCLE_3) | instskip(NEXT) | instid1(SALU_CYCLE_3)
	s_trunc_f32 s9, s9
	s_fmamk_f32 s7, s9, 0xcf800000, s7
	s_cvt_u32_f32 s13, s9
	s_wait_alu 0xfffe
	s_delay_alu instid0(SALU_CYCLE_1) | instskip(NEXT) | instid1(SALU_CYCLE_3)
	s_cvt_u32_f32 s12, s7
	s_mul_u64 s[24:25], s[14:15], s[12:13]
	s_delay_alu instid0(SALU_CYCLE_1)
	s_mul_hi_u32 s29, s12, s25
	s_mul_i32 s28, s12, s25
	s_mul_hi_u32 s22, s12, s24
	s_mul_i32 s9, s13, s24
	s_add_nc_u64 s[22:23], s[22:23], s[28:29]
	s_mul_hi_u32 s7, s13, s24
	s_mul_hi_u32 s21, s13, s25
	s_add_co_u32 s9, s22, s9
	s_wait_alu 0xfffe
	s_add_co_ci_u32 s26, s23, s7
	s_mul_i32 s24, s13, s25
	s_add_co_ci_u32 s25, s21, 0
	s_delay_alu instid0(SALU_CYCLE_1)
	s_add_nc_u64 s[22:23], s[26:27], s[24:25]
	s_mov_b32 s25, s8
	s_add_co_u32 s12, s12, s22
	s_cselect_b32 s7, -1, 0
	s_wait_alu 0xfffe
	s_cmp_lg_u32 s7, 0
	s_add_co_ci_u32 s13, s13, s23
	s_mov_b32 s23, s8
	s_mul_u64 s[14:15], s[14:15], s[12:13]
	s_delay_alu instid0(SALU_CYCLE_1)
	s_mul_hi_u32 s27, s12, s15
	s_mul_i32 s26, s12, s15
	s_mul_hi_u32 s22, s12, s14
	s_mul_i32 s9, s13, s14
	s_add_nc_u64 s[22:23], s[22:23], s[26:27]
	s_mul_hi_u32 s7, s13, s14
	s_mul_hi_u32 s21, s13, s15
	s_add_co_u32 s9, s22, s9
	s_wait_alu 0xfffe
	s_add_co_ci_u32 s24, s23, s7
	s_mul_i32 s14, s13, s15
	s_add_co_ci_u32 s15, s21, 0
	s_mov_b32 s23, s8
	s_add_nc_u64 s[14:15], s[24:25], s[14:15]
	s_delay_alu instid0(SALU_CYCLE_1) | instskip(SKIP_1) | instid1(SALU_CYCLE_1)
	s_add_co_u32 s7, s12, s14
	s_cselect_b32 s9, -1, 0
	s_cmp_lg_u32 s9, 0
	s_add_co_ci_u32 s9, s13, s15
	s_ashr_i32 s12, s3, 31
	s_delay_alu instid0(SALU_CYCLE_1) | instskip(NEXT) | instid1(SALU_CYCLE_1)
	s_mov_b32 s13, s12
	s_add_nc_u64 s[14:15], s[2:3], s[12:13]
	s_delay_alu instid0(SALU_CYCLE_1) | instskip(NEXT) | instid1(SALU_CYCLE_1)
	s_xor_b64 s[14:15], s[14:15], s[12:13]
	s_mul_hi_u32 s27, s14, s9
	s_mul_i32 s26, s14, s9
	s_wait_alu 0xfffe
	s_mul_hi_u32 s22, s14, s7
	s_mul_hi_u32 s21, s15, s7
	s_mul_i32 s7, s15, s7
	s_add_nc_u64 s[22:23], s[22:23], s[26:27]
	s_mul_hi_u32 s3, s15, s9
	s_wait_alu 0xfffe
	s_add_co_u32 s7, s22, s7
	s_add_co_ci_u32 s24, s23, s21
	s_mul_i32 s26, s15, s9
	s_add_co_ci_u32 s27, s3, 0
	s_delay_alu instid0(SALU_CYCLE_1) | instskip(NEXT) | instid1(SALU_CYCLE_1)
	s_add_nc_u64 s[22:23], s[24:25], s[26:27]
	s_mul_u64 s[24:25], s[10:11], s[22:23]
	s_add_nc_u64 s[26:27], s[22:23], 1
	s_sub_co_u32 s3, s14, s24
	s_cselect_b32 s7, -1, 0
	s_sub_co_i32 s9, s15, s25
	s_wait_alu 0xfffe
	s_cmp_lg_u32 s7, 0
	s_add_nc_u64 s[28:29], s[22:23], 2
	s_sub_co_ci_u32 s9, s9, s11
	s_sub_co_u32 s14, s3, s10
	s_cselect_b32 s21, -1, 0
	s_delay_alu instid0(SALU_CYCLE_1) | instskip(SKIP_1) | instid1(SALU_CYCLE_1)
	s_cmp_lg_u32 s21, 0
	s_sub_co_ci_u32 s9, s9, 0
	s_cmp_ge_u32 s9, s11
	s_cselect_b32 s21, -1, 0
	s_cmp_ge_u32 s14, s10
	s_cselect_b32 s14, -1, 0
	s_cmp_eq_u32 s9, s11
	s_cselect_b32 s9, s14, s21
	s_delay_alu instid0(SALU_CYCLE_1)
	s_cmp_lg_u32 s9, 0
	s_cselect_b32 s9, s28, s26
	s_cselect_b32 s14, s29, s27
	s_cmp_lg_u32 s7, 0
	s_sub_co_ci_u32 s7, s15, s25
	s_wait_alu 0xfffe
	s_cmp_ge_u32 s7, s11
	s_cselect_b32 s15, -1, 0
	s_cmp_ge_u32 s3, s10
	s_cselect_b32 s3, -1, 0
	s_cmp_eq_u32 s7, s11
	s_cselect_b32 s3, s3, s15
	s_delay_alu instid0(SALU_CYCLE_1) | instskip(SKIP_3) | instid1(SALU_CYCLE_1)
	s_cmp_lg_u32 s3, 0
	s_cselect_b32 s11, s14, s23
	s_cselect_b32 s10, s9, s22
	s_xor_b64 s[12:13], s[12:13], 0
	s_xor_b64 s[10:11], s[10:11], s[12:13]
	s_delay_alu instid0(SALU_CYCLE_1)
	s_sub_nc_u64 s[10:11], s[10:11], s[12:13]
	s_load_b96 s[12:14], s[0:1], 0x44
	s_and_not1_b32 vcc_lo, exec_lo, s8
	s_cbranch_vccnz .LBB18_6
.LBB18_5:
	v_cvt_f32_u32_e32 v1, s16
	s_sub_co_i32 s7, 0, s16
	s_delay_alu instid0(VALU_DEP_1) | instskip(NEXT) | instid1(TRANS32_DEP_1)
	v_rcp_iflag_f32_e32 v1, v1
	v_mul_f32_e32 v1, 0x4f7ffffe, v1
	s_delay_alu instid0(VALU_DEP_1) | instskip(NEXT) | instid1(VALU_DEP_1)
	v_cvt_u32_f32_e32 v1, v1
	v_readfirstlane_b32 s3, v1
	s_wait_alu 0xfffe
	s_mul_i32 s7, s7, s3
	s_wait_alu 0xfffe
	s_mul_hi_u32 s7, s3, s7
	s_wait_alu 0xfffe
	s_add_co_i32 s3, s3, s7
	s_delay_alu instid0(SALU_CYCLE_1) | instskip(NEXT) | instid1(SALU_CYCLE_1)
	s_mul_hi_u32 s3, s2, s3
	s_mul_i32 s7, s3, s16
	s_wait_alu 0xfffe
	s_sub_co_i32 s2, s2, s7
	s_add_co_i32 s7, s3, 1
	s_sub_co_i32 s8, s2, s16
	s_cmp_ge_u32 s2, s16
	s_wait_alu 0xfffe
	s_cselect_b32 s3, s7, s3
	s_cselect_b32 s2, s8, s2
	s_add_co_i32 s7, s3, 1
	s_cmp_ge_u32 s2, s16
	s_wait_alu 0xfffe
	s_cselect_b32 s10, s7, s3
.LBB18_6:
	s_mov_b32 s21, 0
	s_wait_kmcnt 0x0
	s_mov_b32 s22, s12
	s_mov_b32 s23, s21
	s_cmp_eq_u32 s20, s10
	s_mul_u64 s[2:3], s[20:21], s[22:23]
	s_cselect_b32 s7, -1, 0
	s_add_co_i32 s2, s3, s20
	s_mov_b32 s11, s21
	s_lshr_b32 s12, s2, s13
	s_mul_u64 s[2:3], s[10:11], s[22:23]
	s_mul_i32 s2, s12, s14
	s_delay_alu instid0(SALU_CYCLE_1) | instskip(SKIP_2) | instid1(SALU_CYCLE_1)
	s_cmp_eq_u32 s2, s20
	s_cselect_b32 s2, -1, 0
	s_add_co_i32 s3, s3, s10
	s_lshr_b32 s3, s3, s13
	s_delay_alu instid0(SALU_CYCLE_1)
	s_cmp_eq_u32 s12, s3
	s_mul_i32 s3, s3, s14
	s_cselect_b32 s8, -1, 0
	s_cmp_lg_u32 s3, s10
	s_cselect_b32 s3, -1, 0
	s_wait_alu 0xfffe
	s_or_b32 s2, s7, s2
	s_and_b32 s3, s8, s3
	s_delay_alu instid0(SALU_CYCLE_1) | instskip(NEXT) | instid1(SALU_CYCLE_1)
	s_or_b32 s2, s2, s3
	s_and_b32 vcc_lo, exec_lo, s2
	s_cbranch_vccnz .LBB18_24
; %bb.7:
	s_load_b256 s[24:31], s[0:1], 0x20
	s_mov_b32 s3, s21
	s_load_b32 s7, s[0:1], 0x40
	s_and_b32 s15, ttmp7, 0xffff
	s_wait_kmcnt 0x0
	s_mov_b32 s2, s24
	s_delay_alu instid0(SALU_CYCLE_1) | instskip(NEXT) | instid1(SALU_CYCLE_1)
	s_mul_u64 s[2:3], s[20:21], s[2:3]
	s_add_co_i32 s2, s3, s20
	s_delay_alu instid0(SALU_CYCLE_1) | instskip(NEXT) | instid1(SALU_CYCLE_1)
	s_lshr_b32 s2, s2, s25
	s_mul_i32 s3, s2, s26
	s_delay_alu instid0(SALU_CYCLE_1) | instskip(NEXT) | instid1(SALU_CYCLE_1)
	s_sub_co_i32 s8, s20, s3
	s_mul_hi_u32 s3, s8, s27
	s_delay_alu instid0(SALU_CYCLE_1) | instskip(NEXT) | instid1(SALU_CYCLE_1)
	s_add_co_i32 s3, s8, s3
	s_lshr_b32 s3, s3, s28
	s_delay_alu instid0(SALU_CYCLE_1) | instskip(NEXT) | instid1(SALU_CYCLE_1)
	s_mul_i32 s9, s3, s29
	s_sub_co_i32 s8, s8, s9
	s_delay_alu instid0(SALU_CYCLE_1) | instskip(NEXT) | instid1(SALU_CYCLE_1)
	s_mul_hi_u32 s9, s8, s30
	s_add_co_i32 s9, s8, s9
	s_delay_alu instid0(SALU_CYCLE_1)
	s_lshr_b32 s24, s9, s31
	s_mov_b32 s9, s21
	s_mul_i32 s7, s24, s7
	s_lshr_b32 s21, ttmp7, 16
	s_wait_alu 0xfffe
	s_sub_co_i32 s8, s8, s7
	s_lshl_b32 s24, s24, 3
	s_mul_u64 s[10:11], s[8:9], s[22:23]
	s_delay_alu instid0(SALU_CYCLE_1)
	s_add_co_i32 s7, s8, s11
	s_wait_alu 0xfffe
	s_lshr_b32 s7, s7, s13
	s_wait_alu 0xfffe
	s_add_co_i32 s7, s7, s15
	s_wait_alu 0xfffe
	s_cmp_lt_i32 s7, s4
	s_cselect_b32 s8, -1, 0
	s_add_co_i32 s24, s24, s21
	s_delay_alu instid0(SALU_CYCLE_1) | instskip(SKIP_1) | instid1(SALU_CYCLE_1)
	s_cmp_lt_i32 s24, s6
	s_cselect_b32 s9, -1, 0
	s_and_b32 s8, s8, s9
	s_delay_alu instid0(SALU_CYCLE_1)
	s_and_not1_b32 vcc_lo, exec_lo, s8
	s_cbranch_vccnz .LBB18_24
; %bb.8:
	s_mul_i32 s2, s2, s4
	s_load_b128 s[8:11], s[0:1], 0x0
	s_mul_i32 s3, s3, s6
	s_add_co_i32 s0, s7, s2
	s_add_co_i32 s1, s24, s3
	s_mul_i32 s0, s0, s5
	v_cvt_f32_u32_e32 v4, s16
	s_add_co_i32 s1, s1, s0
	s_add_co_i32 s34, ttmp9, -1
	v_lshl_or_b32 v1, s1, 7, v0
	s_add_nc_u64 s[0:1], s[16:17], 0
	v_rcp_iflag_f32_e32 v4, v4
	s_wait_alu 0xfffe
	s_xor_b64 s[6:7], s[0:1], 0
	s_add_co_i32 s0, s15, ttmp9
	v_ashrrev_i32_e32 v2, 31, v1
	s_wait_alu 0xfffe
	s_cvt_f32_u32 s1, s6
	s_cvt_f32_u32 s2, s7
	s_lshl_b32 s0, s0, 3
	v_lshl_or_b32 v0, s21, 7, v0
	v_lshlrev_b64_e32 v[1:2], 2, v[1:2]
	s_wait_alu 0xfffe
	s_add_co_i32 s0, s0, s21
	s_fmamk_f32 s2, s2, 0x4f800000, s1
	s_wait_alu 0xfffe
	s_ashr_i32 s1, s0, 31
	s_sub_nc_u64 s[30:31], 0, s[6:7]
	s_wait_alu 0xfffe
	s_lshl_b64 s[0:1], s[0:1], 3
	s_wait_kmcnt 0x0
	v_add_co_u32 v1, vcc_lo, s8, v1
	s_delay_alu instid0(VALU_DEP_1)
	v_add_co_ci_u32_e64 v2, null, s9, v2, vcc_lo
	v_s_rcp_f32 s2, s2
	s_wait_alu 0xfffe
	s_add_nc_u64 s[0:1], s[10:11], s[0:1]
	s_mov_b32 s8, 0
	global_load_b32 v3, v[1:2], off
	s_load_b64 s[26:27], s[0:1], 0x0
	v_mul_f32_e32 v4, 0x4f7ffffe, v4
	s_lshl_b32 s0, s16, 5
	s_mul_f32 s2, s2, 0x5f7ffffc
	s_wait_alu 0xfffe
	s_delay_alu instid0(SALU_CYCLE_2) | instskip(SKIP_1) | instid1(SALU_CYCLE_2)
	s_mul_f32 s1, s2, 0x2f800000
	s_wait_alu 0xfffe
	s_trunc_f32 s3, s1
	s_mov_b32 s1, s8
	s_wait_alu 0xfffe
	s_lshl_b64 s[0:1], s[0:1], 2
	s_fmamk_f32 s2, s3, 0xcf800000, s2
	s_cvt_u32_f32 s29, s3
	s_wait_alu 0xfffe
	s_add_nc_u64 s[24:25], s[10:11], s[0:1]
	s_cvt_u32_f32 s28, s2
	s_wait_kmcnt 0x0
	v_mov_b32_e32 v5, s27
	v_cvt_u32_f32_e32 v4, v4
.LBB18_9:                               ; =>This Inner Loop Header: Depth=1
	s_wait_alu 0xfffe
	s_ashr_i32 s35, s34, 31
	s_mov_b32 s2, -1
	s_wait_alu 0xfffe
	s_mul_u64 s[0:1], s[34:35], s[18:19]
                                        ; implicit-def: $sgpr38_sgpr39
	s_wait_alu 0xfffe
	s_mov_b32 s9, s1
	s_wait_alu 0xfffe
	s_cmp_lg_u64 s[8:9], 0
	s_cbranch_scc0 .LBB18_11
; %bb.10:                               ;   in Loop: Header=BB18_9 Depth=1
	s_mul_u64 s[2:3], s[30:31], s[28:29]
	s_mov_b32 s37, s8
	s_wait_alu 0xfffe
	s_mul_hi_u32 s5, s28, s3
	s_mul_i32 s4, s28, s3
	s_mul_hi_u32 s36, s28, s2
	s_mul_hi_u32 s9, s29, s2
	s_wait_alu 0xfffe
	s_add_nc_u64 s[4:5], s[36:37], s[4:5]
	s_mul_i32 s2, s29, s2
	s_mul_hi_u32 s17, s29, s3
	s_wait_alu 0xfffe
	s_add_co_u32 s2, s4, s2
	s_add_co_ci_u32 s2, s5, s9
	s_add_co_ci_u32 s5, s17, 0
	s_mul_i32 s4, s29, s3
	s_mov_b32 s3, s8
	s_mov_b32 s39, s8
	s_wait_alu 0xfffe
	s_add_nc_u64 s[2:3], s[2:3], s[4:5]
	s_wait_alu 0xfffe
	s_add_co_u32 s2, s28, s2
	s_cselect_b32 s4, -1, 0
	s_wait_alu 0xfffe
	s_cmp_lg_u32 s4, 0
	s_add_co_ci_u32 s3, s29, s3
	s_wait_alu 0xfffe
	s_mul_u64 s[4:5], s[30:31], s[2:3]
	s_wait_alu 0xfffe
	s_mul_hi_u32 s37, s2, s5
	s_mul_i32 s36, s2, s5
	s_mul_hi_u32 s38, s2, s4
	s_mul_hi_u32 s9, s3, s4
	s_mul_i32 s4, s3, s4
	s_wait_alu 0xfffe
	s_add_nc_u64 s[36:37], s[38:39], s[36:37]
	s_mul_hi_u32 s17, s3, s5
	s_wait_alu 0xfffe
	s_add_co_u32 s4, s36, s4
	s_add_co_ci_u32 s4, s37, s9
	s_add_co_ci_u32 s37, s17, 0
	s_mul_i32 s36, s3, s5
	s_mov_b32 s5, s8
	s_wait_alu 0xfffe
	s_add_nc_u64 s[4:5], s[4:5], s[36:37]
	s_mov_b32 s37, s8
	s_wait_alu 0xfffe
	s_add_co_u32 s9, s2, s4
	s_cselect_b32 s2, -1, 0
	s_wait_alu 0xfffe
	s_cmp_lg_u32 s2, 0
	s_add_co_ci_u32 s17, s3, s5
	s_ashr_i32 s2, s1, 31
	s_wait_alu 0xfffe
	s_mov_b32 s3, s2
	s_wait_alu 0xfffe
	s_add_nc_u64 s[4:5], s[0:1], s[2:3]
	s_wait_alu 0xfffe
	s_xor_b64 s[4:5], s[4:5], s[2:3]
	s_wait_alu 0xfffe
	s_mul_hi_u32 s39, s4, s17
	s_mul_i32 s38, s4, s17
	s_mul_hi_u32 s36, s4, s9
	s_mul_i32 s27, s5, s9
	s_wait_alu 0xfffe
	s_add_nc_u64 s[36:37], s[36:37], s[38:39]
	s_mul_hi_u32 s9, s5, s9
	s_mul_hi_u32 s1, s5, s17
	s_wait_alu 0xfffe
	s_add_co_u32 s27, s36, s27
	s_add_co_ci_u32 s36, s37, s9
	s_add_co_ci_u32 s39, s1, 0
	s_mul_i32 s38, s5, s17
	s_mov_b32 s37, s8
	s_wait_alu 0xfffe
	s_add_nc_u64 s[36:37], s[36:37], s[38:39]
	s_wait_alu 0xfffe
	s_mul_u64 s[38:39], s[6:7], s[36:37]
	s_add_nc_u64 s[40:41], s[36:37], 1
	s_wait_alu 0xfffe
	s_sub_co_u32 s1, s4, s38
	s_cselect_b32 s4, -1, 0
	s_sub_co_i32 s9, s5, s39
	s_wait_alu 0xfffe
	s_cmp_lg_u32 s4, 0
	s_add_nc_u64 s[42:43], s[36:37], 2
	s_sub_co_ci_u32 s9, s9, s7
	s_sub_co_u32 s17, s1, s6
	s_cselect_b32 s27, -1, 0
	s_wait_alu 0xfffe
	s_cmp_lg_u32 s27, 0
	s_sub_co_ci_u32 s9, s9, 0
	s_wait_alu 0xfffe
	s_cmp_ge_u32 s9, s7
	s_cselect_b32 s27, -1, 0
	s_cmp_ge_u32 s17, s6
	s_cselect_b32 s17, -1, 0
	s_cmp_eq_u32 s9, s7
	s_wait_alu 0xfffe
	s_cselect_b32 s9, s17, s27
	s_wait_alu 0xfffe
	s_cmp_lg_u32 s9, 0
	s_cselect_b32 s9, s42, s40
	s_cselect_b32 s17, s43, s41
	s_cmp_lg_u32 s4, 0
	s_sub_co_ci_u32 s4, s5, s39
	s_wait_alu 0xfffe
	s_cmp_ge_u32 s4, s7
	s_cselect_b32 s5, -1, 0
	s_cmp_ge_u32 s1, s6
	s_cselect_b32 s1, -1, 0
	s_cmp_eq_u32 s4, s7
	s_wait_alu 0xfffe
	s_cselect_b32 s1, s1, s5
	s_wait_alu 0xfffe
	s_cmp_lg_u32 s1, 0
	s_cselect_b32 s5, s17, s37
	s_cselect_b32 s4, s9, s36
	s_xor_b64 s[2:3], s[2:3], 0
	s_wait_alu 0xfffe
	s_xor_b64 s[4:5], s[4:5], s[2:3]
	s_wait_alu 0xfffe
	s_sub_nc_u64 s[38:39], s[4:5], s[2:3]
	s_mov_b32 s2, 0
.LBB18_11:                              ;   in Loop: Header=BB18_9 Depth=1
	s_wait_alu 0xfffe
	s_and_not1_b32 vcc_lo, exec_lo, s2
	s_wait_alu 0xfffe
	s_cbranch_vccnz .LBB18_13
; %bb.12:                               ;   in Loop: Header=BB18_9 Depth=1
	v_readfirstlane_b32 s1, v4
	s_sub_co_i32 s2, 0, s16
	s_wait_alu 0xfffe
	s_mul_i32 s2, s2, s1
	s_wait_alu 0xfffe
	s_mul_hi_u32 s2, s1, s2
	s_wait_alu 0xfffe
	s_add_co_i32 s1, s1, s2
	s_wait_alu 0xfffe
	s_mul_hi_u32 s1, s0, s1
	s_wait_alu 0xfffe
	s_mul_i32 s2, s1, s16
	s_wait_alu 0xfffe
	s_sub_co_i32 s0, s0, s2
	s_add_co_i32 s2, s1, 1
	s_wait_alu 0xfffe
	s_sub_co_i32 s3, s0, s16
	s_cmp_ge_u32 s0, s16
	s_cselect_b32 s1, s2, s1
	s_wait_alu 0xfffe
	s_cselect_b32 s0, s3, s0
	s_add_co_i32 s2, s1, 1
	s_wait_alu 0xfffe
	s_cmp_ge_u32 s0, s16
	s_cselect_b32 s38, s2, s1
.LBB18_13:                              ;   in Loop: Header=BB18_9 Depth=1
	v_readfirstlane_b32 s9, v0
	s_wait_alu 0xfffe
	s_cmp_lg_u32 s20, s38
	s_mov_b32 s0, -1
                                        ; implicit-def: $sgpr27
                                        ; implicit-def: $vgpr6
                                        ; implicit-def: $vgpr7
                                        ; implicit-def: $sgpr17
                                        ; implicit-def: $sgpr33
	s_cbranch_scc1 .LBB18_16
; %bb.14:                               ;   in Loop: Header=BB18_9 Depth=1
	s_wait_alu 0xfffe
	s_and_not1_b32 vcc_lo, exec_lo, s0
	s_wait_alu 0xfffe
	s_cbranch_vccz .LBB18_19
.LBB18_15:                              ;   in Loop: Header=BB18_9 Depth=1
	s_and_not1_b32 vcc_lo, exec_lo, s27
	s_wait_alu 0xfffe
	s_cbranch_vccnz .LBB18_20
	s_branch .LBB18_23
.LBB18_16:                              ;   in Loop: Header=BB18_9 Depth=1
	s_add_co_i32 s40, s34, s15
	s_mov_b32 s1, s8
	s_wait_alu 0xfffe
	s_add_co_i32 s0, s40, s16
	v_max_num_f32_e64 v6, s26, s26
	s_wait_alu 0xfffe
	s_lshl_b32 s0, s0, 3
	s_mov_b32 s39, s8
	s_wait_alu 0xfffe
	s_add_co_i32 s0, s0, s21
	s_mul_u64 s[42:43], s[38:39], s[22:23]
	s_wait_alu 0xfffe
	s_lshl_b64 s[0:1], s[0:1], 3
	s_mov_b32 s33, s20
	s_wait_alu 0xfffe
	s_add_nc_u64 s[0:1], s[10:11], s[0:1]
	s_load_b64 s[36:37], s[0:1], 0x0
	v_readfirstlane_b32 s0, v6
	s_wait_kmcnt 0x0
	v_max_num_f32_e64 v7, s36, s36
	s_delay_alu instid0(VALU_DEP_1) | instskip(SKIP_2) | instid1(SALU_CYCLE_2)
	v_readfirstlane_b32 s1, v7
	s_max_num_f32 s9, s0, s1
	s_wait_alu 0xfffe
	s_sub_f32 s35, s26, s9
	s_sub_f32 s36, s36, s9
	s_wait_alu 0xfffe
	s_delay_alu instid0(SALU_CYCLE_1)
	s_cmp_nlt_f32 s35, 0xc2ce8ed0
	s_cselect_b32 s0, -1, 0
	s_cmp_ngt_f32 s35, 0x42b17218
	s_cselect_b32 s1, -1, 0
	s_cmp_ge_f32 s35, 0xc1a00000
	s_cselect_b32 s2, -1, 0
	s_cmp_nlt_f32 s36, 0xc2ce8ed0
	s_cselect_b32 s3, -1, 0
	s_cmp_ngt_f32 s36, 0x42b17218
	s_cselect_b32 s4, -1, 0
	s_cmp_ge_f32 s36, 0xc1a00000
	s_cselect_b32 s5, -1, 0
	s_add_co_i32 s17, s43, s38
	s_wait_alu 0xfffe
	s_lshr_b32 s17, s17, s13
	s_wait_alu 0xfffe
	s_mul_i32 s27, s17, s14
	s_wait_alu 0xfffe
	s_cmp_eq_u32 s27, s38
	s_cselect_b32 s27, -1, 0
	s_cmp_lt_u32 s17, s12
	s_cselect_b32 s17, -1, 0
	s_wait_alu 0xfffe
	s_or_b32 s17, s17, s27
	s_mov_b32 s27, -1
	s_wait_alu 0xfffe
	s_and_b32 vcc_lo, exec_lo, s17
	s_mov_b32 s17, s34
	s_wait_alu 0xfffe
	s_cbranch_vccnz .LBB18_18
; %bb.17:                               ;   in Loop: Header=BB18_9 Depth=1
	s_add_co_i32 s17, s34, -1
	s_mov_b32 s27, 0
	s_mov_b32 s33, s38
.LBB18_18:                              ;   in Loop: Header=BB18_9 Depth=1
	v_lshl_add_u32 v6, s40, 10, v0
	s_mul_f32 s38, s36, 0x3fb8aa3b
	s_mul_f32 s39, s35, 0x3fb8aa3b
	s_wait_alu 0xfffe
	s_delay_alu instid0(SALU_CYCLE_1)
	s_xor_b32 s40, s38, 0x80000000
	v_ashrrev_i32_e32 v7, 31, v6
	s_rndne_f32 s41, s38
	s_wait_alu 0xfffe
	s_fmamk_f32 s40, s36, 0x3fb8aa3b, s40
	s_xor_b32 s42, s39, 0x80000000
	s_rndne_f32 s43, s39
	v_lshlrev_b64_e32 v[6:7], 2, v[6:7]
	s_sub_f32 s38, s38, s41
	s_wait_alu 0xfffe
	s_fmamk_f32 s36, s36, 0x32a5705f, s40
	s_fmamk_f32 s40, s35, 0x3fb8aa3b, s42
	s_sub_f32 s39, s39, s43
	v_add_co_u32 v6, vcc_lo, s24, v6
	s_wait_alu 0xfffd
	v_add_co_ci_u32_e64 v7, null, s25, v7, vcc_lo
	s_wait_alu 0xfffe
	s_add_f32 s36, s38, s36
	s_fmamk_f32 s35, s35, 0x32a5705f, s40
	s_cvt_i32_f32 s38, s41
	global_load_b32 v6, v[6:7], off
	s_wait_alu 0xfffe
	v_s_exp_f32 s36, s36
	s_add_f32 s35, s39, s35
	s_wait_alu 0xfffe
	s_delay_alu instid0(SALU_CYCLE_2) | instskip(NEXT) | instid1(TRANS32_DEP_2)
	v_s_exp_f32 s35, s35
	v_ldexp_f32 v7, s36, s38
	s_cvt_i32_f32 s36, s43
	s_wait_alu 0xf1fe
	s_delay_alu instid0(TRANS32_DEP_1) | instid1(SALU_CYCLE_2)
	v_ldexp_f32 v8, s35, s36
	s_delay_alu instid0(VALU_DEP_2) | instskip(NEXT) | instid1(VALU_DEP_2)
	v_cndmask_b32_e64 v7, 0, v7, s3
	v_cndmask_b32_e64 v8, 0, v8, s0
	s_delay_alu instid0(VALU_DEP_2) | instskip(NEXT) | instid1(VALU_DEP_2)
	v_cndmask_b32_e64 v7, 0x7f800000, v7, s4
	v_cndmask_b32_e64 v8, 0x7f800000, v8, s1
	;; [unrolled: 3-line block ×3, first 2 shown]
	s_wait_loadcnt 0x0
	s_delay_alu instid0(VALU_DEP_2) | instskip(SKIP_1) | instid1(VALU_DEP_1)
	v_mul_f32_e32 v6, v6, v7
	v_mul_f32_e32 v7, s37, v7
	v_fmac_f32_e32 v7, v5, v8
	s_delay_alu instid0(VALU_DEP_3)
	v_fmac_f32_e32 v6, v3, v8
	s_cbranch_execnz .LBB18_15
.LBB18_19:                              ;   in Loop: Header=BB18_9 Depth=1
	s_wait_loadcnt 0x0
	v_dual_mov_b32 v7, v5 :: v_dual_mov_b32 v6, v3
	s_add_co_i32 s17, s34, -1
	s_mov_b32 s33, s20
	s_mov_b32 s9, s26
	s_cbranch_execz .LBB18_23
.LBB18_20:                              ;   in Loop: Header=BB18_9 Depth=1
	v_mov_b32_e32 v5, v7
	s_wait_loadcnt 0x0
	v_mov_b32_e32 v3, v6
	s_mov_b32 s20, s33
	s_wait_alu 0xfffe
	s_mov_b32 s34, s17
	s_mov_b32 s26, s9
	s_branch .LBB18_9
.LBB18_21:
                                        ; implicit-def: $sgpr20_sgpr21
	s_branch .LBB18_2
.LBB18_22:
                                        ; implicit-def: $sgpr10_sgpr11
	s_load_b96 s[12:14], s[0:1], 0x44
	s_branch .LBB18_5
.LBB18_23:
	v_div_scale_f32 v0, null, v7, v7, v6
	s_wait_loadcnt 0x0
	s_delay_alu instid0(VALU_DEP_1) | instskip(NEXT) | instid1(TRANS32_DEP_1)
	v_rcp_f32_e32 v3, v0
	v_fma_f32 v4, -v0, v3, 1.0
	s_delay_alu instid0(VALU_DEP_1) | instskip(SKIP_1) | instid1(VALU_DEP_1)
	v_fmac_f32_e32 v3, v4, v3
	v_div_scale_f32 v4, vcc_lo, v6, v7, v6
	v_mul_f32_e32 v5, v4, v3
	s_delay_alu instid0(VALU_DEP_1) | instskip(NEXT) | instid1(VALU_DEP_1)
	v_fma_f32 v8, -v0, v5, v4
	v_fmac_f32_e32 v5, v8, v3
	s_delay_alu instid0(VALU_DEP_1) | instskip(SKIP_1) | instid1(VALU_DEP_1)
	v_fma_f32 v0, -v0, v5, v4
	s_wait_alu 0xfffd
	v_div_fmas_f32 v0, v0, v3, v5
	s_delay_alu instid0(VALU_DEP_1)
	v_div_fixup_f32 v0, v0, v7, v6
	global_store_b32 v[1:2], v0, off
.LBB18_24:
	s_endpgm
	.section	.rodata,"a",@progbits
	.p2align	6, 0x0
	.amdhsa_kernel _ZL33flash_attn_stream_k_fixup_generalILi128ELi1ELi8EEvPfPK15HIP_vector_typeIfLj2EEiiiiS1_IjLj3EES5_S5_S5_
		.amdhsa_group_segment_fixed_size 0
		.amdhsa_private_segment_fixed_size 0
		.amdhsa_kernarg_size 336
		.amdhsa_user_sgpr_count 2
		.amdhsa_user_sgpr_dispatch_ptr 0
		.amdhsa_user_sgpr_queue_ptr 0
		.amdhsa_user_sgpr_kernarg_segment_ptr 1
		.amdhsa_user_sgpr_dispatch_id 0
		.amdhsa_user_sgpr_private_segment_size 0
		.amdhsa_wavefront_size32 1
		.amdhsa_uses_dynamic_stack 0
		.amdhsa_enable_private_segment 0
		.amdhsa_system_sgpr_workgroup_id_x 1
		.amdhsa_system_sgpr_workgroup_id_y 1
		.amdhsa_system_sgpr_workgroup_id_z 1
		.amdhsa_system_sgpr_workgroup_info 0
		.amdhsa_system_vgpr_workitem_id 0
		.amdhsa_next_free_vgpr 9
		.amdhsa_next_free_sgpr 44
		.amdhsa_reserve_vcc 1
		.amdhsa_float_round_mode_32 0
		.amdhsa_float_round_mode_16_64 0
		.amdhsa_float_denorm_mode_32 3
		.amdhsa_float_denorm_mode_16_64 3
		.amdhsa_fp16_overflow 0
		.amdhsa_workgroup_processor_mode 1
		.amdhsa_memory_ordered 1
		.amdhsa_forward_progress 1
		.amdhsa_inst_pref_size 28
		.amdhsa_round_robin_scheduling 0
		.amdhsa_exception_fp_ieee_invalid_op 0
		.amdhsa_exception_fp_denorm_src 0
		.amdhsa_exception_fp_ieee_div_zero 0
		.amdhsa_exception_fp_ieee_overflow 0
		.amdhsa_exception_fp_ieee_underflow 0
		.amdhsa_exception_fp_ieee_inexact 0
		.amdhsa_exception_int_div_zero 0
	.end_amdhsa_kernel
	.section	.text._ZL33flash_attn_stream_k_fixup_generalILi128ELi1ELi8EEvPfPK15HIP_vector_typeIfLj2EEiiiiS1_IjLj3EES5_S5_S5_,"axG",@progbits,_ZL33flash_attn_stream_k_fixup_generalILi128ELi1ELi8EEvPfPK15HIP_vector_typeIfLj2EEiiiiS1_IjLj3EES5_S5_S5_,comdat
.Lfunc_end18:
	.size	_ZL33flash_attn_stream_k_fixup_generalILi128ELi1ELi8EEvPfPK15HIP_vector_typeIfLj2EEiiiiS1_IjLj3EES5_S5_S5_, .Lfunc_end18-_ZL33flash_attn_stream_k_fixup_generalILi128ELi1ELi8EEvPfPK15HIP_vector_typeIfLj2EEiiiiS1_IjLj3EES5_S5_S5_
                                        ; -- End function
	.set _ZL33flash_attn_stream_k_fixup_generalILi128ELi1ELi8EEvPfPK15HIP_vector_typeIfLj2EEiiiiS1_IjLj3EES5_S5_S5_.num_vgpr, 9
	.set _ZL33flash_attn_stream_k_fixup_generalILi128ELi1ELi8EEvPfPK15HIP_vector_typeIfLj2EEiiiiS1_IjLj3EES5_S5_S5_.num_agpr, 0
	.set _ZL33flash_attn_stream_k_fixup_generalILi128ELi1ELi8EEvPfPK15HIP_vector_typeIfLj2EEiiiiS1_IjLj3EES5_S5_S5_.numbered_sgpr, 44
	.set _ZL33flash_attn_stream_k_fixup_generalILi128ELi1ELi8EEvPfPK15HIP_vector_typeIfLj2EEiiiiS1_IjLj3EES5_S5_S5_.num_named_barrier, 0
	.set _ZL33flash_attn_stream_k_fixup_generalILi128ELi1ELi8EEvPfPK15HIP_vector_typeIfLj2EEiiiiS1_IjLj3EES5_S5_S5_.private_seg_size, 0
	.set _ZL33flash_attn_stream_k_fixup_generalILi128ELi1ELi8EEvPfPK15HIP_vector_typeIfLj2EEiiiiS1_IjLj3EES5_S5_S5_.uses_vcc, 1
	.set _ZL33flash_attn_stream_k_fixup_generalILi128ELi1ELi8EEvPfPK15HIP_vector_typeIfLj2EEiiiiS1_IjLj3EES5_S5_S5_.uses_flat_scratch, 0
	.set _ZL33flash_attn_stream_k_fixup_generalILi128ELi1ELi8EEvPfPK15HIP_vector_typeIfLj2EEiiiiS1_IjLj3EES5_S5_S5_.has_dyn_sized_stack, 0
	.set _ZL33flash_attn_stream_k_fixup_generalILi128ELi1ELi8EEvPfPK15HIP_vector_typeIfLj2EEiiiiS1_IjLj3EES5_S5_S5_.has_recursion, 0
	.set _ZL33flash_attn_stream_k_fixup_generalILi128ELi1ELi8EEvPfPK15HIP_vector_typeIfLj2EEiiiiS1_IjLj3EES5_S5_S5_.has_indirect_call, 0
	.section	.AMDGPU.csdata,"",@progbits
; Kernel info:
; codeLenInByte = 3556
; TotalNumSgprs: 46
; NumVgprs: 9
; ScratchSize: 0
; MemoryBound: 0
; FloatMode: 240
; IeeeMode: 1
; LDSByteSize: 0 bytes/workgroup (compile time only)
; SGPRBlocks: 0
; VGPRBlocks: 1
; NumSGPRsForWavesPerEU: 46
; NumVGPRsForWavesPerEU: 9
; Occupancy: 16
; WaveLimiterHint : 0
; COMPUTE_PGM_RSRC2:SCRATCH_EN: 0
; COMPUTE_PGM_RSRC2:USER_SGPR: 2
; COMPUTE_PGM_RSRC2:TRAP_HANDLER: 0
; COMPUTE_PGM_RSRC2:TGID_X_EN: 1
; COMPUTE_PGM_RSRC2:TGID_Y_EN: 1
; COMPUTE_PGM_RSRC2:TGID_Z_EN: 1
; COMPUTE_PGM_RSRC2:TIDIG_COMP_CNT: 0
	.section	.text._ZL15flash_attn_tileILi192ELi128ELi2ELi16ELb1EEvPKcS1_S1_S1_S1_PKiPfP15HIP_vector_typeIfLj2EEffffjfiS5_IjLj3EEiiiiiiiiiiiliiliiiiil,"axG",@progbits,_ZL15flash_attn_tileILi192ELi128ELi2ELi16ELb1EEvPKcS1_S1_S1_S1_PKiPfP15HIP_vector_typeIfLj2EEffffjfiS5_IjLj3EEiiiiiiiiiiiliiliiiiil,comdat
	.globl	_ZL15flash_attn_tileILi192ELi128ELi2ELi16ELb1EEvPKcS1_S1_S1_S1_PKiPfP15HIP_vector_typeIfLj2EEffffjfiS5_IjLj3EEiiiiiiiiiiiliiliiiiil ; -- Begin function _ZL15flash_attn_tileILi192ELi128ELi2ELi16ELb1EEvPKcS1_S1_S1_S1_PKiPfP15HIP_vector_typeIfLj2EEffffjfiS5_IjLj3EEiiiiiiiiiiiliiliiiiil
	.p2align	8
	.type	_ZL15flash_attn_tileILi192ELi128ELi2ELi16ELb1EEvPKcS1_S1_S1_S1_PKiPfP15HIP_vector_typeIfLj2EEffffjfiS5_IjLj3EEiiiiiiiiiiiliiliiiiil,@function
_ZL15flash_attn_tileILi192ELi128ELi2ELi16ELb1EEvPKcS1_S1_S1_S1_PKiPfP15HIP_vector_typeIfLj2EEffffjfiS5_IjLj3EEiiiiiiiiiiiliiliiiiil: ; @_ZL15flash_attn_tileILi192ELi128ELi2ELi16ELb1EEvPKcS1_S1_S1_S1_PKiPfP15HIP_vector_typeIfLj2EEffffjfiS5_IjLj3EEiiiiiiiiiiiliiliiiiil
; %bb.0:
	s_clause 0x1
	s_load_b128 s[20:23], s[0:1], 0x5c
	s_load_b64 s[30:31], s[0:1], 0x80
	s_lshr_b32 s5, ttmp7, 16
	s_mov_b32 s37, 0
	s_mov_b64 s[34:35], 0
	s_wait_kmcnt 0x0
	s_ashr_i32 s2, s23, 31
	s_delay_alu instid0(SALU_CYCLE_1) | instskip(NEXT) | instid1(SALU_CYCLE_1)
	s_lshr_b32 s2, s2, 28
	s_add_co_i32 s2, s23, s2
	s_delay_alu instid0(SALU_CYCLE_1) | instskip(NEXT) | instid1(SALU_CYCLE_1)
	s_ashr_i32 s2, s2, 4
	s_cvt_f32_u32 s3, s2
	s_sub_co_i32 s4, 0, s2
	s_delay_alu instid0(SALU_CYCLE_2) | instskip(NEXT) | instid1(TRANS32_DEP_1)
	v_rcp_iflag_f32_e32 v1, s3
	v_readfirstlane_b32 s3, v1
	s_mul_f32 s3, s3, 0x4f7ffffe
	s_wait_alu 0xfffe
	s_delay_alu instid0(SALU_CYCLE_2) | instskip(SKIP_1) | instid1(SALU_CYCLE_2)
	s_cvt_u32_f32 s3, s3
	s_wait_alu 0xfffe
	s_mul_i32 s4, s4, s3
	s_delay_alu instid0(SALU_CYCLE_1) | instskip(NEXT) | instid1(SALU_CYCLE_1)
	s_mul_hi_u32 s4, s3, s4
	s_add_co_i32 s3, s3, s4
	s_wait_alu 0xfffe
	s_mul_hi_u32 s3, s5, s3
	s_wait_alu 0xfffe
	s_mul_i32 s4, s3, s2
	s_add_co_i32 s6, s3, 1
	s_sub_co_i32 s4, s5, s4
	s_delay_alu instid0(SALU_CYCLE_1)
	s_sub_co_i32 s7, s4, s2
	s_cmp_ge_u32 s4, s2
	s_cselect_b32 s3, s6, s3
	s_cselect_b32 s4, s7, s4
	s_wait_alu 0xfffe
	s_add_co_i32 s6, s3, 1
	s_cmp_ge_u32 s4, s2
	s_cselect_b32 s28, s6, s3
	s_abs_i32 s2, s31
	s_abs_i32 s7, s23
	s_wait_alu 0xfffe
	s_cvt_f32_u32 s3, s2
	s_sub_co_i32 s4, 0, s2
	s_lshl_b32 s5, s5, 4
	s_mul_i32 s6, s28, s23
	s_wait_alu 0xfffe
	v_rcp_iflag_f32_e32 v1, s3
	s_sub_co_i32 s33, s5, s6
	s_delay_alu instid0(TRANS32_DEP_1) | instskip(SKIP_2) | instid1(SALU_CYCLE_2)
	v_readfirstlane_b32 s3, v1
	s_mul_f32 s3, s3, 0x4f7ffffe
	s_wait_alu 0xfffe
	s_cvt_u32_f32 s3, s3
	s_wait_alu 0xfffe
	s_delay_alu instid0(SALU_CYCLE_2) | instskip(NEXT) | instid1(SALU_CYCLE_1)
	s_mul_i32 s4, s4, s3
	s_mul_hi_u32 s4, s3, s4
	s_delay_alu instid0(SALU_CYCLE_1)
	s_add_co_i32 s3, s3, s4
	s_xor_b32 s4, s23, s31
	s_wait_alu 0xfffe
	s_mul_hi_u32 s3, s7, s3
	s_ashr_i32 s24, s4, 31
	s_wait_alu 0xfffe
	s_mul_i32 s5, s3, s2
	s_delay_alu instid0(SALU_CYCLE_1)
	s_sub_co_i32 s4, s7, s5
	s_add_co_i32 s5, s3, 1
	s_sub_co_i32 s6, s4, s2
	s_cmp_ge_u32 s4, s2
	s_cselect_b32 s3, s5, s3
	s_cselect_b32 s4, s6, s4
	s_wait_alu 0xfffe
	s_add_co_i32 s5, s3, 1
	s_cmp_ge_u32 s4, s2
	s_cselect_b32 s2, s5, s3
	s_load_b512 s[4:19], s[0:1], 0x0
	s_xor_b32 s2, s2, s24
	s_wait_alu 0xfffe
	s_sub_co_i32 s39, s2, s24
	s_load_b64 s[2:3], s[0:1], 0xb8
	s_abs_i32 s38, s39
	s_delay_alu instid0(SALU_CYCLE_1) | instskip(NEXT) | instid1(SALU_CYCLE_3)
	s_cvt_f32_u32 s24, s38
	v_rcp_iflag_f32_e32 v1, s24
	s_wait_kmcnt 0x0
	s_cmp_eq_u64 s[10:11], 0
	s_delay_alu instid0(TRANS32_DEP_1)
	v_readfirstlane_b32 s24, v1
	s_cbranch_scc1 .LBB19_2
; %bb.1:
	s_abs_i32 s2, s2
	s_wait_alu 0xfffe
	s_cvt_f32_u32 s25, s2
	s_sub_co_i32 s26, 0, s2
	s_wait_alu 0xfffe
	s_delay_alu instid0(SALU_CYCLE_1) | instskip(NEXT) | instid1(TRANS32_DEP_1)
	v_rcp_iflag_f32_e32 v1, s25
	v_readfirstlane_b32 s25, v1
	s_mul_f32 s25, s25, 0x4f7ffffe
	s_wait_alu 0xfffe
	s_delay_alu instid0(SALU_CYCLE_2) | instskip(SKIP_1) | instid1(SALU_CYCLE_2)
	s_cvt_u32_f32 s25, s25
	s_wait_alu 0xfffe
	s_mul_i32 s26, s26, s25
	s_delay_alu instid0(SALU_CYCLE_1)
	s_mul_hi_u32 s29, s25, s26
	s_load_b64 s[26:27], s[0:1], 0xc8
	s_add_co_i32 s25, s25, s29
	s_wait_alu 0xfffe
	s_mul_hi_u32 s25, s28, s25
	s_wait_alu 0xfffe
	s_mul_i32 s25, s25, s2
	s_wait_alu 0xfffe
	s_sub_co_i32 s25, s28, s25
	s_wait_alu 0xfffe
	s_sub_co_i32 s29, s25, s2
	s_cmp_ge_u32 s25, s2
	s_cselect_b32 s25, s29, s25
	s_wait_alu 0xfffe
	s_sub_co_i32 s29, s25, s2
	s_cmp_ge_u32 s25, s2
	s_cselect_b32 s34, s29, s25
	s_delay_alu instid0(SALU_CYCLE_1) | instskip(SKIP_2) | instid1(SALU_CYCLE_1)
	s_ashr_i32 s35, s34, 31
	s_wait_kmcnt 0x0
	s_mul_u64 s[26:27], s[26:27], s[34:35]
	s_add_nc_u64 s[34:35], s[10:11], s[26:27]
.LBB19_2:
	v_lshrrev_b32_e32 v1, 10, v0
	s_load_b96 s[40:42], s[0:1], 0x70
	v_bfe_u32 v2, v0, 10, 10
	v_and_b32_e32 v13, 0x3ff, v0
	s_delay_alu instid0(VALU_DEP_3) | instskip(NEXT) | instid1(VALU_DEP_3)
	v_bfe_u32 v1, v1, 2, 8
	v_mul_u32_u24_e32 v18, 0x600, v2
	s_delay_alu instid0(VALU_DEP_3) | instskip(SKIP_1) | instid1(VALU_DEP_4)
	v_lshlrev_b32_e32 v11, 3, v13
	v_lshlrev_b32_e32 v4, 2, v2
	v_lshl_add_u32 v12, ttmp9, 1, v1
	s_delay_alu instid0(VALU_DEP_3) | instskip(NEXT) | instid1(VALU_DEP_3)
	v_mad_u32_u24 v14, 0x600, v2, v11
	v_and_b32_e32 v16, 12, v4
	s_delay_alu instid0(VALU_DEP_3) | instskip(SKIP_3) | instid1(VALU_DEP_1)
	v_mul_hi_u32 v1, s20, v12
	s_wait_kmcnt 0x0
	s_mul_i32 s20, s33, s41
	s_ashr_i32 s27, s41, 31
	v_add_nc_u32_e32 v1, v12, v1
	s_mov_b32 s26, s41
	s_ashr_i32 s41, s40, 31
	s_delay_alu instid0(SALU_CYCLE_1) | instskip(NEXT) | instid1(VALU_DEP_1)
	s_lshr_b64 s[10:11], s[40:41], 2
	v_lshrrev_b32_e32 v1, s21, v1
	s_lshr_b32 s2, s41, 2
	s_mul_i32 s40, s28, s42
	s_wait_alu 0xfffe
	s_ashr_i32 s21, s20, 31
	s_ashr_i32 s41, s40, 31
	v_mul_lo_u32 v1, v1, s22
	s_add_nc_u64 s[4:5], s[4:5], s[40:41]
	s_wait_alu 0xfffe
	s_add_nc_u64 s[4:5], s[4:5], s[20:21]
	s_delay_alu instid0(VALU_DEP_1) | instskip(NEXT) | instid1(VALU_DEP_1)
	v_sub_nc_u32_e32 v3, v12, v1
	v_mad_co_u64_u32 v[5:6], null, s10, v3, 0
	s_lshr_b64 s[10:11], s[26:27], 2
	v_mov_b32_e32 v1, v6
	s_delay_alu instid0(VALU_DEP_1) | instskip(SKIP_2) | instid1(VALU_DEP_2)
	v_mad_co_u64_u32 v[6:7], null, s2, v3, v[1:2]
	s_wait_alu 0xfffe
	v_mad_co_u64_u32 v[7:8], null, s10, v16, 0
	v_lshlrev_b64_e32 v[0:1], 2, v[5:6]
	v_lshlrev_b32_e32 v5, 4, v13
	s_delay_alu instid0(VALU_DEP_3) | instskip(NEXT) | instid1(VALU_DEP_3)
	v_mad_i32_i24 v8, s27, v16, v8
	v_add_co_u32 v6, vcc_lo, s4, v0
	s_delay_alu instid0(VALU_DEP_1) | instskip(NEXT) | instid1(VALU_DEP_3)
	v_add_co_ci_u32_e64 v9, null, s5, v1, vcc_lo
	v_lshlrev_b64_e32 v[0:1], 2, v[7:8]
	s_delay_alu instid0(VALU_DEP_3) | instskip(SKIP_1) | instid1(VALU_DEP_3)
	v_add_co_u32 v5, vcc_lo, v6, v5
	s_wait_alu 0xfffd
	v_add_co_ci_u32_e64 v6, null, 0, v9, vcc_lo
	s_load_b32 s4, s[0:1], 0x40
	v_add_co_u32 v0, vcc_lo, v5, v0
	s_wait_alu 0xfffd
	v_add_co_ci_u32_e64 v1, null, v6, v1, vcc_lo
	v_cmp_gt_u32_e32 vcc_lo, 16, v13
	global_load_b128 v[7:10], v[0:1], off
	s_wait_loadcnt 0x0
	s_wait_kmcnt 0x0
	v_fma_mixlo_f16 v8, s4, v8, 0
	v_fma_mixlo_f16 v7, s4, v7, 0
	;; [unrolled: 1-line block ×4, first 2 shown]
	s_delay_alu instid0(VALU_DEP_4) | instskip(NEXT) | instid1(VALU_DEP_4)
	v_lshlrev_b32_e32 v8, 16, v8
	v_and_b32_e32 v7, 0xffff, v7
	s_delay_alu instid0(VALU_DEP_4) | instskip(NEXT) | instid1(VALU_DEP_4)
	v_and_b32_e32 v9, 0xffff, v9
	v_lshlrev_b32_e32 v10, 16, v10
	s_delay_alu instid0(VALU_DEP_3) | instskip(NEXT) | instid1(VALU_DEP_2)
	v_or_b32_e32 v7, v8, v7
	v_or3_b32 v8, v10, v9, 0
	s_delay_alu instid0(VALU_DEP_2)
	v_or3_b32 v7, 0, 0, v7
	ds_store_b64 v14, v[7:8]
	s_and_saveexec_b32 s2, vcc_lo
	s_cbranch_execz .LBB19_4
; %bb.3:
	global_load_b128 v[7:10], v[0:1], off offset:512
	s_wait_loadcnt 0x0
	v_fma_mixlo_f16 v0, s4, v8, 0
	v_fma_mixlo_f16 v1, s4, v7, 0
	;; [unrolled: 1-line block ×4, first 2 shown]
	s_delay_alu instid0(VALU_DEP_4) | instskip(NEXT) | instid1(VALU_DEP_4)
	v_lshlrev_b32_e32 v0, 16, v0
	v_and_b32_e32 v1, 0xffff, v1
	s_delay_alu instid0(VALU_DEP_4) | instskip(NEXT) | instid1(VALU_DEP_4)
	v_and_b32_e32 v7, 0xffff, v7
	v_lshlrev_b32_e32 v8, 16, v8
	s_delay_alu instid0(VALU_DEP_3) | instskip(NEXT) | instid1(VALU_DEP_2)
	v_or_b32_e32 v0, v0, v1
	v_or3_b32 v1, v8, v7, 0
	v_add_nc_u32_e32 v7, v11, v18
	s_delay_alu instid0(VALU_DEP_3)
	v_or3_b32 v0, 0, 0, v0
	ds_store_b64 v7, v[0:1] offset:256
.LBB19_4:
	s_wait_alu 0xfffe
	s_or_b32 exec_lo, exec_lo, s2
	v_or_b32_e32 v14, 1, v4
	s_delay_alu instid0(VALU_DEP_1) | instskip(SKIP_2) | instid1(VALU_DEP_3)
	v_and_b32_e32 v7, 13, v14
	v_mul_u32_u24_e32 v15, 0x180, v14
	v_mad_u32_u24 v14, 0x180, v14, v11
	v_mad_co_u64_u32 v[0:1], null, s10, v7, 0
	s_delay_alu instid0(VALU_DEP_1) | instskip(NEXT) | instid1(VALU_DEP_1)
	v_mad_co_u64_u32 v[7:8], null, s11, v7, v[1:2]
	v_mov_b32_e32 v1, v7
	s_delay_alu instid0(VALU_DEP_1) | instskip(NEXT) | instid1(VALU_DEP_1)
	v_lshlrev_b64_e32 v[0:1], 2, v[0:1]
	v_add_co_u32 v0, s2, v5, v0
	s_wait_alu 0xf1ff
	s_delay_alu instid0(VALU_DEP_2)
	v_add_co_ci_u32_e64 v1, null, v6, v1, s2
	global_load_b128 v[7:10], v[0:1], off
	s_wait_loadcnt 0x0
	v_fma_mixlo_f16 v8, s4, v8, 0
	v_fma_mixlo_f16 v7, s4, v7, 0
	;; [unrolled: 1-line block ×4, first 2 shown]
	s_delay_alu instid0(VALU_DEP_4) | instskip(NEXT) | instid1(VALU_DEP_4)
	v_lshlrev_b32_e32 v8, 16, v8
	v_and_b32_e32 v7, 0xffff, v7
	s_delay_alu instid0(VALU_DEP_4) | instskip(NEXT) | instid1(VALU_DEP_4)
	v_and_b32_e32 v9, 0xffff, v9
	v_lshlrev_b32_e32 v10, 16, v10
	s_delay_alu instid0(VALU_DEP_3) | instskip(NEXT) | instid1(VALU_DEP_2)
	v_or_b32_e32 v7, v8, v7
	v_or3_b32 v9, v10, v9, 0
	s_delay_alu instid0(VALU_DEP_2)
	v_or3_b32 v8, 0, 0, v7
	v_add_nc_u32_e32 v7, v11, v15
	ds_store_b64 v14, v[8:9]
	s_and_saveexec_b32 s2, vcc_lo
	s_cbranch_execz .LBB19_6
; %bb.5:
	global_load_b128 v[19:22], v[0:1], off offset:512
	s_wait_loadcnt 0x0
	v_fma_mixlo_f16 v0, s4, v20, 0
	v_fma_mixlo_f16 v1, s4, v19, 0
	;; [unrolled: 1-line block ×4, first 2 shown]
	s_delay_alu instid0(VALU_DEP_4) | instskip(NEXT) | instid1(VALU_DEP_4)
	v_lshlrev_b32_e32 v0, 16, v0
	v_and_b32_e32 v1, 0xffff, v1
	s_delay_alu instid0(VALU_DEP_4) | instskip(NEXT) | instid1(VALU_DEP_4)
	v_and_b32_e32 v8, 0xffff, v8
	v_lshlrev_b32_e32 v9, 16, v9
	s_delay_alu instid0(VALU_DEP_3) | instskip(NEXT) | instid1(VALU_DEP_2)
	v_or_b32_e32 v0, v0, v1
	v_or3_b32 v1, v9, v8, 0
	s_delay_alu instid0(VALU_DEP_2)
	v_or3_b32 v0, 0, 0, v0
	ds_store_b64 v7, v[0:1] offset:256
.LBB19_6:
	s_wait_alu 0xfffe
	s_or_b32 exec_lo, exec_lo, s2
	v_or_b32_e32 v0, 2, v4
	s_delay_alu instid0(VALU_DEP_1) | instskip(NEXT) | instid1(VALU_DEP_1)
	v_and_b32_e32 v8, 14, v0
	v_mad_co_u64_u32 v[0:1], null, s10, v8, 0
	s_delay_alu instid0(VALU_DEP_1) | instskip(NEXT) | instid1(VALU_DEP_1)
	v_mad_co_u64_u32 v[8:9], null, s11, v8, v[1:2]
	v_mov_b32_e32 v1, v8
	s_delay_alu instid0(VALU_DEP_1) | instskip(NEXT) | instid1(VALU_DEP_1)
	v_lshlrev_b64_e32 v[0:1], 2, v[0:1]
	v_add_co_u32 v0, s2, v5, v0
	s_wait_alu 0xf1ff
	s_delay_alu instid0(VALU_DEP_2)
	v_add_co_ci_u32_e64 v1, null, v6, v1, s2
	global_load_b128 v[19:22], v[0:1], off
	s_wait_loadcnt 0x0
	v_fma_mixlo_f16 v8, s4, v20, 0
	v_fma_mixlo_f16 v9, s4, v19, 0
	;; [unrolled: 1-line block ×4, first 2 shown]
	s_delay_alu instid0(VALU_DEP_4) | instskip(NEXT) | instid1(VALU_DEP_4)
	v_lshlrev_b32_e32 v8, 16, v8
	v_and_b32_e32 v9, 0xffff, v9
	s_delay_alu instid0(VALU_DEP_4) | instskip(NEXT) | instid1(VALU_DEP_4)
	v_and_b32_e32 v10, 0xffff, v10
	v_lshlrev_b32_e32 v14, 16, v14
	s_delay_alu instid0(VALU_DEP_3) | instskip(NEXT) | instid1(VALU_DEP_2)
	v_or_b32_e32 v8, v8, v9
	v_or3_b32 v9, v14, v10, 0
	s_delay_alu instid0(VALU_DEP_2)
	v_or3_b32 v8, 0, 0, v8
	ds_store_b64 v7, v[8:9] offset:384
	s_and_saveexec_b32 s2, vcc_lo
	s_cbranch_execz .LBB19_8
; %bb.7:
	global_load_b128 v[19:22], v[0:1], off offset:512
	s_wait_loadcnt 0x0
	v_fma_mixlo_f16 v0, s4, v20, 0
	v_fma_mixlo_f16 v1, s4, v19, 0
	;; [unrolled: 1-line block ×4, first 2 shown]
	s_delay_alu instid0(VALU_DEP_4) | instskip(NEXT) | instid1(VALU_DEP_4)
	v_lshlrev_b32_e32 v0, 16, v0
	v_and_b32_e32 v1, 0xffff, v1
	s_delay_alu instid0(VALU_DEP_4) | instskip(NEXT) | instid1(VALU_DEP_4)
	v_and_b32_e32 v8, 0xffff, v8
	v_lshlrev_b32_e32 v9, 16, v9
	s_delay_alu instid0(VALU_DEP_3) | instskip(NEXT) | instid1(VALU_DEP_2)
	v_or_b32_e32 v0, v0, v1
	v_or3_b32 v1, v9, v8, 0
	s_delay_alu instid0(VALU_DEP_2)
	v_or3_b32 v0, 0, 0, v0
	ds_store_b64 v7, v[0:1] offset:640
.LBB19_8:
	s_wait_alu 0xfffe
	s_or_b32 exec_lo, exec_lo, s2
	v_or_b32_e32 v0, 3, v4
	s_delay_alu instid0(VALU_DEP_1) | instskip(NEXT) | instid1(VALU_DEP_1)
	v_and_b32_e32 v8, 15, v0
	v_mad_co_u64_u32 v[0:1], null, s10, v8, 0
	s_delay_alu instid0(VALU_DEP_1) | instskip(NEXT) | instid1(VALU_DEP_1)
	v_mad_co_u64_u32 v[8:9], null, s11, v8, v[1:2]
	v_mov_b32_e32 v1, v8
	s_delay_alu instid0(VALU_DEP_1) | instskip(NEXT) | instid1(VALU_DEP_1)
	v_lshlrev_b64_e32 v[0:1], 2, v[0:1]
	v_add_co_u32 v0, s2, v5, v0
	s_wait_alu 0xf1ff
	s_delay_alu instid0(VALU_DEP_2)
	v_add_co_ci_u32_e64 v1, null, v6, v1, s2
	global_load_b128 v[19:22], v[0:1], off
	s_wait_loadcnt 0x0
	v_fma_mixlo_f16 v5, s4, v20, 0
	v_fma_mixlo_f16 v6, s4, v19, 0
	;; [unrolled: 1-line block ×4, first 2 shown]
	s_delay_alu instid0(VALU_DEP_4) | instskip(NEXT) | instid1(VALU_DEP_4)
	v_lshlrev_b32_e32 v5, 16, v5
	v_and_b32_e32 v6, 0xffff, v6
	s_delay_alu instid0(VALU_DEP_4) | instskip(NEXT) | instid1(VALU_DEP_4)
	v_and_b32_e32 v8, 0xffff, v8
	v_lshlrev_b32_e32 v9, 16, v9
	s_delay_alu instid0(VALU_DEP_3) | instskip(NEXT) | instid1(VALU_DEP_2)
	v_or_b32_e32 v5, v5, v6
	v_or3_b32 v6, v9, v8, 0
	s_delay_alu instid0(VALU_DEP_2)
	v_or3_b32 v5, 0, 0, v5
	ds_store_b64 v7, v[5:6] offset:768
	s_and_saveexec_b32 s2, vcc_lo
	s_cbranch_execz .LBB19_10
; %bb.9:
	global_load_b128 v[19:22], v[0:1], off offset:512
	s_wait_loadcnt 0x0
	v_fma_mixlo_f16 v0, s4, v20, 0
	v_fma_mixlo_f16 v1, s4, v19, 0
	;; [unrolled: 1-line block ×4, first 2 shown]
	s_delay_alu instid0(VALU_DEP_4) | instskip(NEXT) | instid1(VALU_DEP_4)
	v_lshlrev_b32_e32 v0, 16, v0
	v_and_b32_e32 v1, 0xffff, v1
	s_delay_alu instid0(VALU_DEP_4) | instskip(NEXT) | instid1(VALU_DEP_4)
	v_and_b32_e32 v5, 0xffff, v5
	v_lshlrev_b32_e32 v6, 16, v6
	s_delay_alu instid0(VALU_DEP_3) | instskip(NEXT) | instid1(VALU_DEP_2)
	v_or_b32_e32 v0, v0, v1
	v_or3_b32 v1, v6, v5, 0
	s_delay_alu instid0(VALU_DEP_2)
	v_or3_b32 v0, 0, 0, v0
	ds_store_b64 v7, v[0:1] offset:1024
.LBB19_10:
	s_wait_alu 0xfffe
	s_or_b32 exec_lo, exec_lo, s2
	s_cmp_eq_u64 s[14:15], 0
	s_wait_dscnt 0x0
	s_barrier_signal -1
	s_barrier_wait -1
	global_inv scope:SCOPE_SE
	s_cbranch_scc1 .LBB19_12
; %bb.11:
	s_load_b32 s2, s[0:1], 0xd0
	s_mov_b32 s5, 0
	s_wait_kmcnt 0x0
	s_mul_i32 s2, s2, s28
	s_wait_alu 0xfffe
	s_add_co_i32 s4, s2, ttmp9
	s_wait_alu 0xfffe
	s_lshl_b64 s[4:5], s[4:5], 2
	s_wait_alu 0xfffe
	s_add_nc_u64 s[4:5], s[14:15], s[4:5]
	s_load_b32 s30, s[4:5], 0x0
.LBB19_12:
	s_and_b32 s2, ttmp7, 0xffff
	v_mbcnt_lo_u32_b32 v19, -1, 0
	s_wait_alu 0xfffe
	s_lshl_b32 s4, s2, 6
	s_wait_kmcnt 0x0
	s_wait_alu 0xfffe
	s_cmp_lt_i32 s4, s30
	s_cbranch_scc1 .LBB19_15
; %bb.13:
	v_mbcnt_lo_u32_b32 v5, -1, 0
	v_mov_b32_e32 v20, 32
	s_delay_alu instid0(VALU_DEP_2)
	v_xor_b32_e32 v55, 16, v5
	v_xor_b32_e32 v54, 8, v5
	;; [unrolled: 1-line block ×5, first 2 shown]
	v_lshlrev_b32_e32 v17, 2, v13
	s_mov_b32 s29, 0
	s_cbranch_execz .LBB19_16
; %bb.14:
	v_dual_mov_b32 v34, 0 :: v_dual_mov_b32 v3, 0xfeffffff
	v_dual_mov_b32 v48, 0 :: v_dual_mov_b32 v1, 0xfeffffff
	;; [unrolled: 1-line block ×8, first 2 shown]
	s_branch .LBB19_52
.LBB19_15:
                                        ; implicit-def: $vgpr5
                                        ; implicit-def: $vgpr20
                                        ; implicit-def: $vgpr55
                                        ; implicit-def: $vgpr54
                                        ; implicit-def: $vgpr53
                                        ; implicit-def: $vgpr52
                                        ; implicit-def: $vgpr51
	v_lshlrev_b32_e32 v17, 2, v13
	s_mov_b32 s29, 0
.LBB19_16:
	s_mul_f32 s5, s24, 0x4f7ffffe
	s_clause 0x1
	s_load_b128 s[24:27], s[0:1], 0x98
	s_load_b64 s[14:15], s[0:1], 0x8c
	s_sub_co_i32 s10, 0, s38
	v_lshrrev_b32_e32 v0, 3, v13
	s_cvt_u32_f32 s5, s5
	v_lshrrev_b32_e32 v5, 4, v13
	v_dual_mov_b32 v29, 0 :: v_dual_and_b32 v20, 28, v17
	s_wait_alu 0xfffe
	s_mul_i32 s10, s10, s5
	s_clause 0x1
	s_load_b32 s31, s[0:1], 0x54
	s_load_b64 s[20:21], s[0:1], 0xa8
	s_mul_hi_u32 s10, s5, s10
	s_abs_i32 s36, s33
	s_mov_b32 s11, s37
	s_wait_alu 0xfffe
	s_add_co_i32 s10, s5, s10
	v_dual_mov_b32 v42, 0xfeffffff :: v_dual_add_nc_u32 v1, v0, v4
	v_lshl_add_u32 v5, v2, 1, v5
	s_wait_alu 0xfffe
	s_mul_u64 s[10:11], s[36:37], s[10:11]
	v_dual_mov_b32 v31, 0 :: v_dual_lshlrev_b32 v4, 2, v20
	s_wait_kmcnt 0x0
	s_ashr_i32 s10, s26, 2
	s_ashr_i32 s14, s14, 2
	v_dual_mov_b32 v33, 0 :: v_dual_and_b32 v28, 60, v17
	s_wait_alu 0xfffe
	s_mul_i32 s37, s11, s38
	v_mul_lo_u32 v0, s14, v1
	v_mul_lo_u32 v9, s10, v5
	s_ashr_i32 s40, s33, 31
	s_ashr_i32 s5, s39, 31
	s_sub_co_i32 s26, s36, s37
	s_ashr_i32 s3, s3, 1
	s_wait_alu 0xfffe
	s_xor_b32 s5, s40, s5
	s_add_co_i32 s39, s11, 1
	s_sub_co_i32 s36, s26, s38
	v_mad_u32_u24 v4, 0x90, v1, v4
	v_dual_mov_b32 v35, 0 :: v_dual_lshlrev_b32 v6, 2, v28
	s_cmp_ge_u32 s26, s38
	v_lshl_add_u32 v7, s14, 5, v0
	s_cselect_b32 s11, s39, s11
	s_cselect_b32 s26, s36, s26
	s_wait_alu 0xfffe
	s_add_co_i32 s36, s11, 1
	v_add_nc_u32_e32 v21, 0x3000, v4
	v_dual_mov_b32 v39, 0 :: v_dual_add_nc_u32 v22, 0x4200, v4
	v_lshl_or_b32 v6, v5, 8, v6
	v_mad_co_u64_u32 v[4:5], null, v3, s3, v[13:14]
	v_lshl_add_u32 v14, s10, 4, v9
	s_cmp_ge_u32 s26, s38
	v_ashrrev_i32_e32 v1, 31, v0
	s_cselect_b32 s11, s36, s11
	v_ashrrev_i32_e32 v8, 31, v7
	s_wait_alu 0xfffe
	s_xor_b32 s11, s11, s5
	v_ashrrev_i32_e32 v10, 31, v9
	v_ashrrev_i32_e32 v15, 31, v14
	s_mul_u64 s[24:25], s[24:25], s[28:29]
	s_mul_u64 s[20:21], s[20:21], s[28:29]
	s_wait_alu 0xfffe
	s_sub_co_i32 s5, s11, s5
	s_add_nc_u64 s[6:7], s[6:7], s[24:25]
	s_wait_alu 0xfffe
	s_mul_i32 s24, s5, s15
	s_add_nc_u64 s[8:9], s[8:9], s[20:21]
	s_mul_i32 s20, s5, s27
	s_movk_i32 s5, 0x3000
	v_dual_mov_b32 v30, 0 :: v_dual_add_nc_u32 v25, 0x3000, v6
	v_dual_mov_b32 v37, 0 :: v_dual_add_nc_u32 v26, 0x4000, v6
	v_lshlrev_b64_e32 v[5:6], 2, v[0:1]
	v_lshlrev_b64_e32 v[7:8], 2, v[7:8]
	;; [unrolled: 1-line block ×4, first 2 shown]
	s_wait_alu 0xfffe
	v_mad_u32_u24 v23, 0x90, v13, s5
	v_lshl_add_u32 v24, v2, 9, 0x5400
	v_dual_mov_b32 v32, 0 :: v_dual_lshlrev_b32 v27, 2, v20
	v_mov_b32_e32 v20, 32
	v_dual_mov_b32 v43, 0xfeffffff :: v_dual_lshlrev_b32 v28, 2, v28
	v_dual_mov_b32 v36, 0 :: v_dual_mov_b32 v41, 0xfeffffff
	v_mov_b32_e32 v34, 0
	v_mov_b32_e32 v44, 0xfeffffff
	;; [unrolled: 1-line block ×4, first 2 shown]
	s_ashr_i32 s25, s24, 31
	s_ashr_i32 s21, s20, 31
	s_wait_alu 0xfffe
	s_add_nc_u64 s[6:7], s[6:7], s[24:25]
	s_add_nc_u64 s[8:9], s[8:9], s[20:21]
	s_ashr_i32 s15, s14, 31
	s_ashr_i32 s11, s10, 31
	s_add_nc_u64 s[20:21], s[0:1], 0xd0
	s_mov_b32 s3, 0xbbbac73d
.LBB19_17:                              ; =>This Inner Loop Header: Depth=1
	s_ashr_i32 s5, s4, 31
	s_wait_alu 0xfffe
	s_mul_u64 s[24:25], s[4:5], s[14:15]
	s_wait_alu 0xfffe
	s_lshl_b64 s[24:25], s[24:25], 2
	s_wait_alu 0xfffe
	s_add_nc_u64 s[24:25], s[6:7], s[24:25]
	s_wait_alu 0xfffe
	v_add_co_u32 v0, vcc_lo, s24, v5
	s_wait_alu 0xfffd
	v_add_co_ci_u32_e64 v1, null, s25, v6, vcc_lo
	v_add_co_u32 v2, vcc_lo, s24, v7
	s_wait_alu 0xfffd
	v_add_co_ci_u32_e64 v3, null, s25, v8, vcc_lo
	;; [unrolled: 3-line block ×4, first 2 shown]
	s_clause 0x1
	global_load_b128 v[45:48], v[0:1], off
	global_load_b128 v[49:52], v[2:3], off
	s_wait_loadcnt 0x1
	ds_store_b128 v21, v[45:48]
	s_wait_loadcnt 0x0
	ds_store_b128 v22, v[49:52]
	s_wait_dscnt 0x0
	s_barrier_signal -1
	s_barrier_wait -1
	global_inv scope:SCOPE_SE
	ds_load_b128 v[53:56], v23
	ds_load_b128 v[57:60], v18
	ds_load_b128 v[61:64], v18 offset:384
	ds_load_b128 v[65:68], v18 offset:768
	v_dual_mov_b32 v51, 0 :: v_dual_mov_b32 v52, 0
	ds_load_b128 v[69:72], v18 offset:1152
	ds_load_b128 v[73:76], v23 offset:4608
	v_dual_mov_b32 v49, 0 :: v_dual_mov_b32 v50, 0
	v_dual_mov_b32 v47, 0 :: v_dual_mov_b32 v48, 0
	s_wait_dscnt 0x4
	;;#ASMSTART
	v_dot2_f32_f16 v51, v53, v57, v51
	;;#ASMEND
	;;#ASMSTART
	v_dot2_f32_f16 v51, v54, v58, v51
	;;#ASMEND
	;; [unrolled: 3-line block ×4, first 2 shown]
	s_wait_dscnt 0x3
	;;#ASMSTART
	v_dot2_f32_f16 v49, v53, v61, v49
	;;#ASMEND
	;;#ASMSTART
	v_dot2_f32_f16 v49, v54, v62, v49
	;;#ASMEND
	;; [unrolled: 3-line block ×4, first 2 shown]
	s_wait_dscnt 0x2
	;;#ASMSTART
	v_dot2_f32_f16 v47, v53, v65, v47
	;;#ASMEND
	;;#ASMSTART
	v_dot2_f32_f16 v47, v54, v66, v47
	;;#ASMEND
	v_dual_mov_b32 v45, 0 :: v_dual_mov_b32 v46, 0
	;;#ASMSTART
	v_dot2_f32_f16 v47, v55, v67, v47
	;;#ASMEND
	;;#ASMSTART
	v_dot2_f32_f16 v47, v56, v68, v47
	;;#ASMEND
	s_wait_dscnt 0x1
	;;#ASMSTART
	v_dot2_f32_f16 v45, v53, v69, v45
	;;#ASMEND
	;;#ASMSTART
	v_dot2_f32_f16 v45, v54, v70, v45
	;;#ASMEND
	;;#ASMSTART
	v_dot2_f32_f16 v45, v55, v71, v45
	;;#ASMEND
	;;#ASMSTART
	v_dot2_f32_f16 v45, v56, v72, v45
	;;#ASMEND
	s_wait_dscnt 0x0
	;;#ASMSTART
	v_dot2_f32_f16 v52, v73, v57, v52
	;;#ASMEND
	;;#ASMSTART
	v_dot2_f32_f16 v52, v74, v58, v52
	;;#ASMEND
	;; [unrolled: 3-line block ×16, first 2 shown]
	ds_load_b128 v[53:56], v23 offset:16
	ds_load_b128 v[57:60], v18 offset:16
	;; [unrolled: 1-line block ×6, first 2 shown]
	s_wait_dscnt 0x4
	;;#ASMSTART
	v_dot2_f32_f16 v51, v53, v57, v51
	;;#ASMEND
	;;#ASMSTART
	v_dot2_f32_f16 v51, v54, v58, v51
	;;#ASMEND
	;;#ASMSTART
	v_dot2_f32_f16 v51, v55, v59, v51
	;;#ASMEND
	;;#ASMSTART
	v_dot2_f32_f16 v51, v56, v60, v51
	;;#ASMEND
	s_wait_dscnt 0x3
	;;#ASMSTART
	v_dot2_f32_f16 v49, v53, v61, v49
	;;#ASMEND
	;;#ASMSTART
	v_dot2_f32_f16 v49, v54, v62, v49
	;;#ASMEND
	;;#ASMSTART
	v_dot2_f32_f16 v49, v55, v63, v49
	;;#ASMEND
	;;#ASMSTART
	v_dot2_f32_f16 v49, v56, v64, v49
	;;#ASMEND
	;; [unrolled: 13-line block ×5, first 2 shown]
	;;#ASMSTART
	v_dot2_f32_f16 v50, v73, v61, v50
	;;#ASMEND
	;;#ASMSTART
	v_dot2_f32_f16 v50, v74, v62, v50
	;;#ASMEND
	;; [unrolled: 3-line block ×12, first 2 shown]
	ds_load_b128 v[53:56], v23 offset:32
	ds_load_b128 v[57:60], v18 offset:32
	;; [unrolled: 1-line block ×6, first 2 shown]
	s_wait_dscnt 0x4
	;;#ASMSTART
	v_dot2_f32_f16 v51, v53, v57, v51
	;;#ASMEND
	;;#ASMSTART
	v_dot2_f32_f16 v51, v54, v58, v51
	;;#ASMEND
	;;#ASMSTART
	v_dot2_f32_f16 v51, v55, v59, v51
	;;#ASMEND
	;;#ASMSTART
	v_dot2_f32_f16 v51, v56, v60, v51
	;;#ASMEND
	s_wait_dscnt 0x3
	;;#ASMSTART
	v_dot2_f32_f16 v49, v53, v61, v49
	;;#ASMEND
	;;#ASMSTART
	v_dot2_f32_f16 v49, v54, v62, v49
	;;#ASMEND
	;;#ASMSTART
	v_dot2_f32_f16 v49, v55, v63, v49
	;;#ASMEND
	;;#ASMSTART
	v_dot2_f32_f16 v49, v56, v64, v49
	;;#ASMEND
	;; [unrolled: 13-line block ×5, first 2 shown]
	;;#ASMSTART
	v_dot2_f32_f16 v50, v73, v61, v50
	;;#ASMEND
	;;#ASMSTART
	v_dot2_f32_f16 v50, v74, v62, v50
	;;#ASMEND
	;; [unrolled: 3-line block ×12, first 2 shown]
	ds_load_b128 v[53:56], v23 offset:48
	ds_load_b128 v[57:60], v18 offset:48
	;; [unrolled: 1-line block ×6, first 2 shown]
	s_wait_dscnt 0x4
	;;#ASMSTART
	v_dot2_f32_f16 v51, v53, v57, v51
	;;#ASMEND
	;;#ASMSTART
	v_dot2_f32_f16 v51, v54, v58, v51
	;;#ASMEND
	;;#ASMSTART
	v_dot2_f32_f16 v51, v55, v59, v51
	;;#ASMEND
	;;#ASMSTART
	v_dot2_f32_f16 v51, v56, v60, v51
	;;#ASMEND
	s_wait_dscnt 0x3
	;;#ASMSTART
	v_dot2_f32_f16 v49, v53, v61, v49
	;;#ASMEND
	;;#ASMSTART
	v_dot2_f32_f16 v49, v54, v62, v49
	;;#ASMEND
	;;#ASMSTART
	v_dot2_f32_f16 v49, v55, v63, v49
	;;#ASMEND
	;;#ASMSTART
	v_dot2_f32_f16 v49, v56, v64, v49
	;;#ASMEND
	;; [unrolled: 13-line block ×5, first 2 shown]
	;;#ASMSTART
	v_dot2_f32_f16 v50, v73, v61, v50
	;;#ASMEND
	;;#ASMSTART
	v_dot2_f32_f16 v50, v74, v62, v50
	;;#ASMEND
	;; [unrolled: 3-line block ×12, first 2 shown]
	ds_load_b128 v[53:56], v23 offset:64
	ds_load_b128 v[57:60], v18 offset:64
	;; [unrolled: 1-line block ×6, first 2 shown]
	s_wait_dscnt 0x4
	;;#ASMSTART
	v_dot2_f32_f16 v51, v53, v57, v51
	;;#ASMEND
	;;#ASMSTART
	v_dot2_f32_f16 v51, v54, v58, v51
	;;#ASMEND
	;;#ASMSTART
	v_dot2_f32_f16 v51, v55, v59, v51
	;;#ASMEND
	;;#ASMSTART
	v_dot2_f32_f16 v51, v56, v60, v51
	;;#ASMEND
	s_wait_dscnt 0x3
	;;#ASMSTART
	v_dot2_f32_f16 v49, v53, v61, v49
	;;#ASMEND
	;;#ASMSTART
	v_dot2_f32_f16 v49, v54, v62, v49
	;;#ASMEND
	;;#ASMSTART
	v_dot2_f32_f16 v49, v55, v63, v49
	;;#ASMEND
	;;#ASMSTART
	v_dot2_f32_f16 v49, v56, v64, v49
	;;#ASMEND
	;; [unrolled: 13-line block ×5, first 2 shown]
	;;#ASMSTART
	v_dot2_f32_f16 v50, v73, v61, v50
	;;#ASMEND
	;;#ASMSTART
	v_dot2_f32_f16 v50, v74, v62, v50
	;;#ASMEND
	;; [unrolled: 3-line block ×12, first 2 shown]
	ds_load_b128 v[53:56], v23 offset:80
	ds_load_b128 v[57:60], v18 offset:80
	;; [unrolled: 1-line block ×6, first 2 shown]
	s_wait_dscnt 0x4
	;;#ASMSTART
	v_dot2_f32_f16 v51, v53, v57, v51
	;;#ASMEND
	;;#ASMSTART
	v_dot2_f32_f16 v51, v54, v58, v51
	;;#ASMEND
	;;#ASMSTART
	v_dot2_f32_f16 v51, v55, v59, v51
	;;#ASMEND
	;;#ASMSTART
	v_dot2_f32_f16 v51, v56, v60, v51
	;;#ASMEND
	s_wait_dscnt 0x3
	;;#ASMSTART
	v_dot2_f32_f16 v49, v53, v61, v49
	;;#ASMEND
	;;#ASMSTART
	v_dot2_f32_f16 v49, v54, v62, v49
	;;#ASMEND
	;;#ASMSTART
	v_dot2_f32_f16 v49, v55, v63, v49
	;;#ASMEND
	;;#ASMSTART
	v_dot2_f32_f16 v49, v56, v64, v49
	;;#ASMEND
	;; [unrolled: 13-line block ×5, first 2 shown]
	;;#ASMSTART
	v_dot2_f32_f16 v50, v73, v61, v50
	;;#ASMEND
	;;#ASMSTART
	v_dot2_f32_f16 v50, v74, v62, v50
	;;#ASMEND
	;; [unrolled: 3-line block ×12, first 2 shown]
	ds_load_b128 v[53:56], v23 offset:96
	ds_load_b128 v[57:60], v18 offset:96
	;; [unrolled: 1-line block ×6, first 2 shown]
	s_wait_dscnt 0x4
	;;#ASMSTART
	v_dot2_f32_f16 v51, v53, v57, v51
	;;#ASMEND
	;;#ASMSTART
	v_dot2_f32_f16 v51, v54, v58, v51
	;;#ASMEND
	;;#ASMSTART
	v_dot2_f32_f16 v51, v55, v59, v51
	;;#ASMEND
	;;#ASMSTART
	v_dot2_f32_f16 v51, v56, v60, v51
	;;#ASMEND
	s_wait_dscnt 0x3
	;;#ASMSTART
	v_dot2_f32_f16 v49, v53, v61, v49
	;;#ASMEND
	;;#ASMSTART
	v_dot2_f32_f16 v49, v54, v62, v49
	;;#ASMEND
	;;#ASMSTART
	v_dot2_f32_f16 v49, v55, v63, v49
	;;#ASMEND
	;;#ASMSTART
	v_dot2_f32_f16 v49, v56, v64, v49
	;;#ASMEND
	;; [unrolled: 13-line block ×5, first 2 shown]
	;;#ASMSTART
	v_dot2_f32_f16 v50, v73, v61, v50
	;;#ASMEND
	;;#ASMSTART
	v_dot2_f32_f16 v50, v74, v62, v50
	;;#ASMEND
	;; [unrolled: 3-line block ×12, first 2 shown]
	ds_load_b128 v[53:56], v23 offset:112
	ds_load_b128 v[57:60], v18 offset:112
	;; [unrolled: 1-line block ×6, first 2 shown]
	s_wait_dscnt 0x4
	;;#ASMSTART
	v_dot2_f32_f16 v51, v53, v57, v51
	;;#ASMEND
	;;#ASMSTART
	v_dot2_f32_f16 v51, v54, v58, v51
	;;#ASMEND
	;;#ASMSTART
	v_dot2_f32_f16 v51, v55, v59, v51
	;;#ASMEND
	;;#ASMSTART
	v_dot2_f32_f16 v51, v56, v60, v51
	;;#ASMEND
	s_wait_dscnt 0x3
	;;#ASMSTART
	v_dot2_f32_f16 v49, v53, v61, v49
	;;#ASMEND
	;;#ASMSTART
	v_dot2_f32_f16 v49, v54, v62, v49
	;;#ASMEND
	;;#ASMSTART
	v_dot2_f32_f16 v49, v55, v63, v49
	;;#ASMEND
	;;#ASMSTART
	v_dot2_f32_f16 v49, v56, v64, v49
	;;#ASMEND
	;; [unrolled: 13-line block ×5, first 2 shown]
	;;#ASMSTART
	v_dot2_f32_f16 v50, v73, v61, v50
	;;#ASMEND
	;;#ASMSTART
	v_dot2_f32_f16 v50, v74, v62, v50
	;;#ASMEND
	;; [unrolled: 3-line block ×12, first 2 shown]
	s_wait_loadcnt 0x0
	s_barrier_signal -1
	s_barrier_wait -1
	global_inv scope:SCOPE_SE
	s_clause 0x1
	global_load_b128 v[53:56], v[0:1], off offset:128
	global_load_b128 v[57:60], v[2:3], off offset:128
	s_wait_loadcnt 0x1
	ds_store_b128 v21, v[53:56]
	s_wait_loadcnt 0x0
	ds_store_b128 v22, v[57:60]
	s_wait_dscnt 0x0
	s_barrier_signal -1
	s_barrier_wait -1
	global_inv scope:SCOPE_SE
	ds_load_b128 v[53:56], v23
	ds_load_b128 v[57:60], v18 offset:128
	ds_load_b128 v[61:64], v18 offset:512
	;; [unrolled: 1-line block ×5, first 2 shown]
	s_wait_dscnt 0x4
	;;#ASMSTART
	v_dot2_f32_f16 v51, v53, v57, v51
	;;#ASMEND
	;;#ASMSTART
	v_dot2_f32_f16 v51, v54, v58, v51
	;;#ASMEND
	;;#ASMSTART
	v_dot2_f32_f16 v51, v55, v59, v51
	;;#ASMEND
	;;#ASMSTART
	v_dot2_f32_f16 v51, v56, v60, v51
	;;#ASMEND
	s_wait_dscnt 0x3
	;;#ASMSTART
	v_dot2_f32_f16 v49, v53, v61, v49
	;;#ASMEND
	;;#ASMSTART
	v_dot2_f32_f16 v49, v54, v62, v49
	;;#ASMEND
	;;#ASMSTART
	v_dot2_f32_f16 v49, v55, v63, v49
	;;#ASMEND
	;;#ASMSTART
	v_dot2_f32_f16 v49, v56, v64, v49
	;;#ASMEND
	;; [unrolled: 13-line block ×5, first 2 shown]
	;;#ASMSTART
	v_dot2_f32_f16 v50, v73, v61, v50
	;;#ASMEND
	;;#ASMSTART
	v_dot2_f32_f16 v50, v74, v62, v50
	;;#ASMEND
	;; [unrolled: 3-line block ×12, first 2 shown]
	ds_load_b128 v[53:56], v23 offset:16
	ds_load_b128 v[57:60], v18 offset:144
	;; [unrolled: 1-line block ×6, first 2 shown]
	s_wait_dscnt 0x4
	;;#ASMSTART
	v_dot2_f32_f16 v51, v53, v57, v51
	;;#ASMEND
	;;#ASMSTART
	v_dot2_f32_f16 v51, v54, v58, v51
	;;#ASMEND
	;;#ASMSTART
	v_dot2_f32_f16 v51, v55, v59, v51
	;;#ASMEND
	;;#ASMSTART
	v_dot2_f32_f16 v51, v56, v60, v51
	;;#ASMEND
	s_wait_dscnt 0x3
	;;#ASMSTART
	v_dot2_f32_f16 v49, v53, v61, v49
	;;#ASMEND
	;;#ASMSTART
	v_dot2_f32_f16 v49, v54, v62, v49
	;;#ASMEND
	;;#ASMSTART
	v_dot2_f32_f16 v49, v55, v63, v49
	;;#ASMEND
	;;#ASMSTART
	v_dot2_f32_f16 v49, v56, v64, v49
	;;#ASMEND
	;; [unrolled: 13-line block ×5, first 2 shown]
	;;#ASMSTART
	v_dot2_f32_f16 v50, v73, v61, v50
	;;#ASMEND
	;;#ASMSTART
	v_dot2_f32_f16 v50, v74, v62, v50
	;;#ASMEND
	;; [unrolled: 3-line block ×12, first 2 shown]
	ds_load_b128 v[53:56], v23 offset:32
	ds_load_b128 v[57:60], v18 offset:160
	;; [unrolled: 1-line block ×6, first 2 shown]
	s_wait_dscnt 0x4
	;;#ASMSTART
	v_dot2_f32_f16 v51, v53, v57, v51
	;;#ASMEND
	;;#ASMSTART
	v_dot2_f32_f16 v51, v54, v58, v51
	;;#ASMEND
	;;#ASMSTART
	v_dot2_f32_f16 v51, v55, v59, v51
	;;#ASMEND
	;;#ASMSTART
	v_dot2_f32_f16 v51, v56, v60, v51
	;;#ASMEND
	s_wait_dscnt 0x3
	;;#ASMSTART
	v_dot2_f32_f16 v49, v53, v61, v49
	;;#ASMEND
	;;#ASMSTART
	v_dot2_f32_f16 v49, v54, v62, v49
	;;#ASMEND
	;;#ASMSTART
	v_dot2_f32_f16 v49, v55, v63, v49
	;;#ASMEND
	;;#ASMSTART
	v_dot2_f32_f16 v49, v56, v64, v49
	;;#ASMEND
	;; [unrolled: 13-line block ×5, first 2 shown]
	;;#ASMSTART
	v_dot2_f32_f16 v50, v73, v61, v50
	;;#ASMEND
	;;#ASMSTART
	v_dot2_f32_f16 v50, v74, v62, v50
	;;#ASMEND
	;; [unrolled: 3-line block ×12, first 2 shown]
	ds_load_b128 v[53:56], v23 offset:48
	ds_load_b128 v[57:60], v18 offset:176
	;; [unrolled: 1-line block ×6, first 2 shown]
	s_wait_dscnt 0x4
	;;#ASMSTART
	v_dot2_f32_f16 v51, v53, v57, v51
	;;#ASMEND
	;;#ASMSTART
	v_dot2_f32_f16 v51, v54, v58, v51
	;;#ASMEND
	;;#ASMSTART
	v_dot2_f32_f16 v51, v55, v59, v51
	;;#ASMEND
	;;#ASMSTART
	v_dot2_f32_f16 v51, v56, v60, v51
	;;#ASMEND
	s_wait_dscnt 0x3
	;;#ASMSTART
	v_dot2_f32_f16 v49, v53, v61, v49
	;;#ASMEND
	;;#ASMSTART
	v_dot2_f32_f16 v49, v54, v62, v49
	;;#ASMEND
	;;#ASMSTART
	v_dot2_f32_f16 v49, v55, v63, v49
	;;#ASMEND
	;;#ASMSTART
	v_dot2_f32_f16 v49, v56, v64, v49
	;;#ASMEND
	;; [unrolled: 13-line block ×5, first 2 shown]
	;;#ASMSTART
	v_dot2_f32_f16 v50, v73, v61, v50
	;;#ASMEND
	;;#ASMSTART
	v_dot2_f32_f16 v50, v74, v62, v50
	;;#ASMEND
	;; [unrolled: 3-line block ×12, first 2 shown]
	ds_load_b128 v[53:56], v23 offset:64
	ds_load_b128 v[57:60], v18 offset:192
	;; [unrolled: 1-line block ×6, first 2 shown]
	s_wait_dscnt 0x4
	;;#ASMSTART
	v_dot2_f32_f16 v51, v53, v57, v51
	;;#ASMEND
	;;#ASMSTART
	v_dot2_f32_f16 v51, v54, v58, v51
	;;#ASMEND
	;;#ASMSTART
	v_dot2_f32_f16 v51, v55, v59, v51
	;;#ASMEND
	;;#ASMSTART
	v_dot2_f32_f16 v51, v56, v60, v51
	;;#ASMEND
	s_wait_dscnt 0x3
	;;#ASMSTART
	v_dot2_f32_f16 v49, v53, v61, v49
	;;#ASMEND
	;;#ASMSTART
	v_dot2_f32_f16 v49, v54, v62, v49
	;;#ASMEND
	;;#ASMSTART
	v_dot2_f32_f16 v49, v55, v63, v49
	;;#ASMEND
	;;#ASMSTART
	v_dot2_f32_f16 v49, v56, v64, v49
	;;#ASMEND
	s_wait_dscnt 0x2
	;;#ASMSTART
	v_dot2_f32_f16 v47, v53, v65, v47
	;;#ASMEND
	;;#ASMSTART
	v_dot2_f32_f16 v47, v54, v66, v47
	;;#ASMEND
	;;#ASMSTART
	v_dot2_f32_f16 v47, v55, v67, v47
	;;#ASMEND
	;;#ASMSTART
	v_dot2_f32_f16 v47, v56, v68, v47
	;;#ASMEND
	s_wait_dscnt 0x1
	;;#ASMSTART
	v_dot2_f32_f16 v45, v53, v69, v45
	;;#ASMEND
	;;#ASMSTART
	v_dot2_f32_f16 v45, v54, v70, v45
	;;#ASMEND
	;;#ASMSTART
	v_dot2_f32_f16 v45, v55, v71, v45
	;;#ASMEND
	;;#ASMSTART
	v_dot2_f32_f16 v45, v56, v72, v45
	;;#ASMEND
	s_wait_dscnt 0x0
	;;#ASMSTART
	v_dot2_f32_f16 v52, v73, v57, v52
	;;#ASMEND
	;;#ASMSTART
	v_dot2_f32_f16 v52, v74, v58, v52
	;;#ASMEND
	;;#ASMSTART
	v_dot2_f32_f16 v52, v75, v59, v52
	;;#ASMEND
	;;#ASMSTART
	v_dot2_f32_f16 v52, v76, v60, v52
	;;#ASMEND
	;;#ASMSTART
	v_dot2_f32_f16 v50, v73, v61, v50
	;;#ASMEND
	;;#ASMSTART
	v_dot2_f32_f16 v50, v74, v62, v50
	;;#ASMEND
	;; [unrolled: 3-line block ×12, first 2 shown]
	ds_load_b128 v[53:56], v23 offset:80
	ds_load_b128 v[57:60], v18 offset:208
	;; [unrolled: 1-line block ×6, first 2 shown]
	s_wait_dscnt 0x4
	;;#ASMSTART
	v_dot2_f32_f16 v51, v53, v57, v51
	;;#ASMEND
	;;#ASMSTART
	v_dot2_f32_f16 v51, v54, v58, v51
	;;#ASMEND
	;;#ASMSTART
	v_dot2_f32_f16 v51, v55, v59, v51
	;;#ASMEND
	;;#ASMSTART
	v_dot2_f32_f16 v51, v56, v60, v51
	;;#ASMEND
	s_wait_dscnt 0x3
	;;#ASMSTART
	v_dot2_f32_f16 v49, v53, v61, v49
	;;#ASMEND
	;;#ASMSTART
	v_dot2_f32_f16 v49, v54, v62, v49
	;;#ASMEND
	;;#ASMSTART
	v_dot2_f32_f16 v49, v55, v63, v49
	;;#ASMEND
	;;#ASMSTART
	v_dot2_f32_f16 v49, v56, v64, v49
	;;#ASMEND
	;; [unrolled: 13-line block ×5, first 2 shown]
	;;#ASMSTART
	v_dot2_f32_f16 v50, v73, v61, v50
	;;#ASMEND
	;;#ASMSTART
	v_dot2_f32_f16 v50, v74, v62, v50
	;;#ASMEND
	;;#ASMSTART
	v_dot2_f32_f16 v50, v75, v63, v50
	;;#ASMEND
	;;#ASMSTART
	v_dot2_f32_f16 v50, v76, v64, v50
	;;#ASMEND
	;;#ASMSTART
	v_dot2_f32_f16 v48, v73, v65, v48
	;;#ASMEND
	;;#ASMSTART
	v_dot2_f32_f16 v48, v74, v66, v48
	;;#ASMEND
	;;#ASMSTART
	v_dot2_f32_f16 v48, v75, v67, v48
	;;#ASMEND
	;;#ASMSTART
	v_dot2_f32_f16 v48, v76, v68, v48
	;;#ASMEND
	;;#ASMSTART
	v_dot2_f32_f16 v46, v73, v69, v46
	;;#ASMEND
	;;#ASMSTART
	v_dot2_f32_f16 v46, v74, v70, v46
	;;#ASMEND
	;;#ASMSTART
	v_dot2_f32_f16 v46, v75, v71, v46
	;;#ASMEND
	;;#ASMSTART
	v_dot2_f32_f16 v46, v76, v72, v46
	;;#ASMEND
	ds_load_b128 v[53:56], v23 offset:96
	ds_load_b128 v[57:60], v18 offset:224
	ds_load_b128 v[61:64], v18 offset:608
	ds_load_b128 v[65:68], v18 offset:992
	ds_load_b128 v[69:72], v18 offset:1376
	ds_load_b128 v[73:76], v23 offset:4704
	s_wait_dscnt 0x4
	;;#ASMSTART
	v_dot2_f32_f16 v51, v53, v57, v51
	;;#ASMEND
	;;#ASMSTART
	v_dot2_f32_f16 v51, v54, v58, v51
	;;#ASMEND
	;;#ASMSTART
	v_dot2_f32_f16 v51, v55, v59, v51
	;;#ASMEND
	;;#ASMSTART
	v_dot2_f32_f16 v51, v56, v60, v51
	;;#ASMEND
	s_wait_dscnt 0x3
	;;#ASMSTART
	v_dot2_f32_f16 v49, v53, v61, v49
	;;#ASMEND
	;;#ASMSTART
	v_dot2_f32_f16 v49, v54, v62, v49
	;;#ASMEND
	;;#ASMSTART
	v_dot2_f32_f16 v49, v55, v63, v49
	;;#ASMEND
	;;#ASMSTART
	v_dot2_f32_f16 v49, v56, v64, v49
	;;#ASMEND
	;; [unrolled: 13-line block ×5, first 2 shown]
	;;#ASMSTART
	v_dot2_f32_f16 v50, v73, v61, v50
	;;#ASMEND
	;;#ASMSTART
	v_dot2_f32_f16 v50, v74, v62, v50
	;;#ASMEND
	;; [unrolled: 3-line block ×12, first 2 shown]
	ds_load_b128 v[53:56], v23 offset:112
	ds_load_b128 v[57:60], v18 offset:240
	;; [unrolled: 1-line block ×6, first 2 shown]
	s_wait_dscnt 0x4
	;;#ASMSTART
	v_dot2_f32_f16 v51, v53, v57, v51
	;;#ASMEND
	;;#ASMSTART
	v_dot2_f32_f16 v51, v54, v58, v51
	;;#ASMEND
	;;#ASMSTART
	v_dot2_f32_f16 v51, v55, v59, v51
	;;#ASMEND
	;;#ASMSTART
	v_dot2_f32_f16 v51, v56, v60, v51
	;;#ASMEND
	s_wait_dscnt 0x3
	;;#ASMSTART
	v_dot2_f32_f16 v49, v53, v61, v49
	;;#ASMEND
	;;#ASMSTART
	v_dot2_f32_f16 v49, v54, v62, v49
	;;#ASMEND
	;;#ASMSTART
	v_dot2_f32_f16 v49, v55, v63, v49
	;;#ASMEND
	;;#ASMSTART
	v_dot2_f32_f16 v49, v56, v64, v49
	;;#ASMEND
	s_wait_dscnt 0x2
	;;#ASMSTART
	v_dot2_f32_f16 v47, v53, v65, v47
	;;#ASMEND
	;;#ASMSTART
	v_dot2_f32_f16 v47, v54, v66, v47
	;;#ASMEND
	;;#ASMSTART
	v_dot2_f32_f16 v47, v55, v67, v47
	;;#ASMEND
	;;#ASMSTART
	v_dot2_f32_f16 v47, v56, v68, v47
	;;#ASMEND
	s_wait_dscnt 0x1
	;;#ASMSTART
	v_dot2_f32_f16 v45, v53, v69, v45
	;;#ASMEND
	;;#ASMSTART
	v_dot2_f32_f16 v45, v54, v70, v45
	;;#ASMEND
	;;#ASMSTART
	v_dot2_f32_f16 v45, v55, v71, v45
	;;#ASMEND
	;;#ASMSTART
	v_dot2_f32_f16 v45, v56, v72, v45
	;;#ASMEND
	s_wait_dscnt 0x0
	;;#ASMSTART
	v_dot2_f32_f16 v52, v73, v57, v52
	;;#ASMEND
	;;#ASMSTART
	v_dot2_f32_f16 v52, v74, v58, v52
	;;#ASMEND
	;;#ASMSTART
	v_dot2_f32_f16 v52, v75, v59, v52
	;;#ASMEND
	;;#ASMSTART
	v_dot2_f32_f16 v52, v76, v60, v52
	;;#ASMEND
	;;#ASMSTART
	v_dot2_f32_f16 v50, v73, v61, v50
	;;#ASMEND
	;;#ASMSTART
	v_dot2_f32_f16 v50, v74, v62, v50
	;;#ASMEND
	;; [unrolled: 3-line block ×12, first 2 shown]
	s_wait_loadcnt 0x0
	s_barrier_signal -1
	s_barrier_wait -1
	global_inv scope:SCOPE_SE
	s_clause 0x1
	global_load_b128 v[53:56], v[0:1], off offset:256
	global_load_b128 v[0:3], v[2:3], off offset:256
	s_wait_loadcnt 0x1
	ds_store_b128 v21, v[53:56]
	s_wait_loadcnt 0x0
	ds_store_b128 v22, v[0:3]
	s_wait_dscnt 0x0
	s_barrier_signal -1
	s_barrier_wait -1
	global_inv scope:SCOPE_SE
	ds_load_b128 v[0:3], v23
	ds_load_b128 v[53:56], v18 offset:256
	ds_load_b128 v[57:60], v18 offset:640
	;; [unrolled: 1-line block ×5, first 2 shown]
	s_wait_dscnt 0x4
	;;#ASMSTART
	v_dot2_f32_f16 v51, v0, v53, v51
	;;#ASMEND
	;;#ASMSTART
	v_dot2_f32_f16 v51, v1, v54, v51
	;;#ASMEND
	;;#ASMSTART
	v_dot2_f32_f16 v51, v2, v55, v51
	;;#ASMEND
	;;#ASMSTART
	v_dot2_f32_f16 v51, v3, v56, v51
	;;#ASMEND
	s_wait_dscnt 0x3
	;;#ASMSTART
	v_dot2_f32_f16 v49, v0, v57, v49
	;;#ASMEND
	;;#ASMSTART
	v_dot2_f32_f16 v49, v1, v58, v49
	;;#ASMEND
	;;#ASMSTART
	v_dot2_f32_f16 v49, v2, v59, v49
	;;#ASMEND
	;;#ASMSTART
	v_dot2_f32_f16 v49, v3, v60, v49
	;;#ASMEND
	;; [unrolled: 13-line block ×5, first 2 shown]
	;;#ASMSTART
	v_dot2_f32_f16 v50, v69, v57, v50
	;;#ASMEND
	;;#ASMSTART
	v_dot2_f32_f16 v50, v70, v58, v50
	;;#ASMEND
	;; [unrolled: 3-line block ×12, first 2 shown]
	ds_load_b128 v[0:3], v23 offset:16
	ds_load_b128 v[53:56], v18 offset:272
	;; [unrolled: 1-line block ×6, first 2 shown]
	s_wait_dscnt 0x4
	;;#ASMSTART
	v_dot2_f32_f16 v51, v0, v53, v51
	;;#ASMEND
	;;#ASMSTART
	v_dot2_f32_f16 v51, v1, v54, v51
	;;#ASMEND
	;;#ASMSTART
	v_dot2_f32_f16 v51, v2, v55, v51
	;;#ASMEND
	;;#ASMSTART
	v_dot2_f32_f16 v51, v3, v56, v51
	;;#ASMEND
	s_wait_dscnt 0x3
	;;#ASMSTART
	v_dot2_f32_f16 v49, v0, v57, v49
	;;#ASMEND
	;;#ASMSTART
	v_dot2_f32_f16 v49, v1, v58, v49
	;;#ASMEND
	;;#ASMSTART
	v_dot2_f32_f16 v49, v2, v59, v49
	;;#ASMEND
	;;#ASMSTART
	v_dot2_f32_f16 v49, v3, v60, v49
	;;#ASMEND
	;; [unrolled: 13-line block ×5, first 2 shown]
	;;#ASMSTART
	v_dot2_f32_f16 v50, v69, v57, v50
	;;#ASMEND
	;;#ASMSTART
	v_dot2_f32_f16 v50, v70, v58, v50
	;;#ASMEND
	;; [unrolled: 3-line block ×12, first 2 shown]
	ds_load_b128 v[0:3], v23 offset:32
	ds_load_b128 v[53:56], v18 offset:288
	;; [unrolled: 1-line block ×6, first 2 shown]
	s_wait_dscnt 0x4
	;;#ASMSTART
	v_dot2_f32_f16 v51, v0, v53, v51
	;;#ASMEND
	;;#ASMSTART
	v_dot2_f32_f16 v51, v1, v54, v51
	;;#ASMEND
	;;#ASMSTART
	v_dot2_f32_f16 v51, v2, v55, v51
	;;#ASMEND
	;;#ASMSTART
	v_dot2_f32_f16 v51, v3, v56, v51
	;;#ASMEND
	s_wait_dscnt 0x3
	;;#ASMSTART
	v_dot2_f32_f16 v49, v0, v57, v49
	;;#ASMEND
	;;#ASMSTART
	v_dot2_f32_f16 v49, v1, v58, v49
	;;#ASMEND
	;;#ASMSTART
	v_dot2_f32_f16 v49, v2, v59, v49
	;;#ASMEND
	;;#ASMSTART
	v_dot2_f32_f16 v49, v3, v60, v49
	;;#ASMEND
	;; [unrolled: 13-line block ×5, first 2 shown]
	;;#ASMSTART
	v_dot2_f32_f16 v50, v69, v57, v50
	;;#ASMEND
	;;#ASMSTART
	v_dot2_f32_f16 v50, v70, v58, v50
	;;#ASMEND
	;; [unrolled: 3-line block ×12, first 2 shown]
	ds_load_b128 v[0:3], v23 offset:48
	ds_load_b128 v[53:56], v18 offset:304
	;; [unrolled: 1-line block ×6, first 2 shown]
	s_wait_dscnt 0x4
	;;#ASMSTART
	v_dot2_f32_f16 v51, v0, v53, v51
	;;#ASMEND
	;;#ASMSTART
	v_dot2_f32_f16 v51, v1, v54, v51
	;;#ASMEND
	;;#ASMSTART
	v_dot2_f32_f16 v51, v2, v55, v51
	;;#ASMEND
	;;#ASMSTART
	v_dot2_f32_f16 v51, v3, v56, v51
	;;#ASMEND
	s_wait_dscnt 0x3
	;;#ASMSTART
	v_dot2_f32_f16 v49, v0, v57, v49
	;;#ASMEND
	;;#ASMSTART
	v_dot2_f32_f16 v49, v1, v58, v49
	;;#ASMEND
	;;#ASMSTART
	v_dot2_f32_f16 v49, v2, v59, v49
	;;#ASMEND
	;;#ASMSTART
	v_dot2_f32_f16 v49, v3, v60, v49
	;;#ASMEND
	;; [unrolled: 13-line block ×5, first 2 shown]
	;;#ASMSTART
	v_dot2_f32_f16 v50, v69, v57, v50
	;;#ASMEND
	;;#ASMSTART
	v_dot2_f32_f16 v50, v70, v58, v50
	;;#ASMEND
	;; [unrolled: 3-line block ×12, first 2 shown]
	ds_load_b128 v[0:3], v23 offset:64
	ds_load_b128 v[53:56], v18 offset:320
	ds_load_b128 v[57:60], v18 offset:704
	ds_load_b128 v[61:64], v18 offset:1088
	ds_load_b128 v[65:68], v18 offset:1472
	ds_load_b128 v[69:72], v23 offset:4672
	s_wait_dscnt 0x4
	;;#ASMSTART
	v_dot2_f32_f16 v51, v0, v53, v51
	;;#ASMEND
	;;#ASMSTART
	v_dot2_f32_f16 v51, v1, v54, v51
	;;#ASMEND
	;;#ASMSTART
	v_dot2_f32_f16 v51, v2, v55, v51
	;;#ASMEND
	;;#ASMSTART
	v_dot2_f32_f16 v51, v3, v56, v51
	;;#ASMEND
	s_wait_dscnt 0x3
	;;#ASMSTART
	v_dot2_f32_f16 v49, v0, v57, v49
	;;#ASMEND
	;;#ASMSTART
	v_dot2_f32_f16 v49, v1, v58, v49
	;;#ASMEND
	;;#ASMSTART
	v_dot2_f32_f16 v49, v2, v59, v49
	;;#ASMEND
	;;#ASMSTART
	v_dot2_f32_f16 v49, v3, v60, v49
	;;#ASMEND
	;; [unrolled: 13-line block ×5, first 2 shown]
	;;#ASMSTART
	v_dot2_f32_f16 v50, v69, v57, v50
	;;#ASMEND
	;;#ASMSTART
	v_dot2_f32_f16 v50, v70, v58, v50
	;;#ASMEND
	;; [unrolled: 3-line block ×12, first 2 shown]
	ds_load_b128 v[0:3], v23 offset:80
	ds_load_b128 v[53:56], v18 offset:336
	;; [unrolled: 1-line block ×6, first 2 shown]
	s_wait_dscnt 0x4
	;;#ASMSTART
	v_dot2_f32_f16 v51, v0, v53, v51
	;;#ASMEND
	;;#ASMSTART
	v_dot2_f32_f16 v51, v1, v54, v51
	;;#ASMEND
	;;#ASMSTART
	v_dot2_f32_f16 v51, v2, v55, v51
	;;#ASMEND
	;;#ASMSTART
	v_dot2_f32_f16 v51, v3, v56, v51
	;;#ASMEND
	s_wait_dscnt 0x3
	;;#ASMSTART
	v_dot2_f32_f16 v49, v0, v57, v49
	;;#ASMEND
	;;#ASMSTART
	v_dot2_f32_f16 v49, v1, v58, v49
	;;#ASMEND
	;;#ASMSTART
	v_dot2_f32_f16 v49, v2, v59, v49
	;;#ASMEND
	;;#ASMSTART
	v_dot2_f32_f16 v49, v3, v60, v49
	;;#ASMEND
	;; [unrolled: 13-line block ×5, first 2 shown]
	;;#ASMSTART
	v_dot2_f32_f16 v50, v69, v57, v50
	;;#ASMEND
	;;#ASMSTART
	v_dot2_f32_f16 v50, v70, v58, v50
	;;#ASMEND
	;; [unrolled: 3-line block ×12, first 2 shown]
	ds_load_b128 v[0:3], v23 offset:96
	ds_load_b128 v[53:56], v18 offset:352
	;; [unrolled: 1-line block ×6, first 2 shown]
	s_wait_dscnt 0x4
	;;#ASMSTART
	v_dot2_f32_f16 v51, v0, v53, v51
	;;#ASMEND
	;;#ASMSTART
	v_dot2_f32_f16 v51, v1, v54, v51
	;;#ASMEND
	;;#ASMSTART
	v_dot2_f32_f16 v51, v2, v55, v51
	;;#ASMEND
	;;#ASMSTART
	v_dot2_f32_f16 v51, v3, v56, v51
	;;#ASMEND
	s_wait_dscnt 0x3
	;;#ASMSTART
	v_dot2_f32_f16 v49, v0, v57, v49
	;;#ASMEND
	;;#ASMSTART
	v_dot2_f32_f16 v49, v1, v58, v49
	;;#ASMEND
	;;#ASMSTART
	v_dot2_f32_f16 v49, v2, v59, v49
	;;#ASMEND
	;;#ASMSTART
	v_dot2_f32_f16 v49, v3, v60, v49
	;;#ASMEND
	;; [unrolled: 13-line block ×5, first 2 shown]
	;;#ASMSTART
	v_dot2_f32_f16 v50, v69, v57, v50
	;;#ASMEND
	;;#ASMSTART
	v_dot2_f32_f16 v50, v70, v58, v50
	;;#ASMEND
	;; [unrolled: 3-line block ×12, first 2 shown]
	ds_load_b128 v[0:3], v23 offset:112
	ds_load_b128 v[53:56], v18 offset:368
	;; [unrolled: 1-line block ×6, first 2 shown]
	s_wait_dscnt 0x4
	;;#ASMSTART
	v_dot2_f32_f16 v51, v0, v53, v51
	;;#ASMEND
	;;#ASMSTART
	v_dot2_f32_f16 v51, v1, v54, v51
	;;#ASMEND
	;;#ASMSTART
	v_dot2_f32_f16 v51, v2, v55, v51
	;;#ASMEND
	;;#ASMSTART
	v_dot2_f32_f16 v51, v3, v56, v51
	;;#ASMEND
	s_wait_dscnt 0x3
	;;#ASMSTART
	v_dot2_f32_f16 v49, v0, v57, v49
	;;#ASMEND
	;;#ASMSTART
	v_dot2_f32_f16 v49, v1, v58, v49
	;;#ASMEND
	;;#ASMSTART
	v_dot2_f32_f16 v49, v2, v59, v49
	;;#ASMEND
	;;#ASMSTART
	v_dot2_f32_f16 v49, v3, v60, v49
	;;#ASMEND
	;; [unrolled: 13-line block ×5, first 2 shown]
	;;#ASMSTART
	v_dot2_f32_f16 v50, v69, v57, v50
	;;#ASMEND
	;;#ASMSTART
	v_dot2_f32_f16 v50, v70, v58, v50
	;;#ASMEND
	;; [unrolled: 3-line block ×5, first 2 shown]
	v_cmp_ngt_f32_e64 s24, 0x3f200000, |v51|
	;;#ASMSTART
	v_dot2_f32_f16 v48, v70, v62, v48
	;;#ASMEND
	;;#ASMSTART
	v_dot2_f32_f16 v48, v71, v63, v48
	;;#ASMEND
	;; [unrolled: 3-line block ×7, first 2 shown]
                                        ; implicit-def: $vgpr2
	s_and_saveexec_b32 s25, s24
	s_wait_alu 0xfffe
	s_xor_b32 s24, exec_lo, s25
	s_cbranch_execz .LBB19_19
; %bb.18:                               ;   in Loop: Header=BB19_17 Depth=1
	v_add_f32_e64 v0, |v51|, |v51|
	s_delay_alu instid0(VALU_DEP_1) | instskip(SKIP_1) | instid1(VALU_DEP_2)
	v_mul_f32_e32 v1, 0x3fb8aa3b, v0
	v_cmp_ngt_f32_e32 vcc_lo, 0xc2ce8ed0, v0
	v_rndne_f32_e32 v2, v1
	v_fma_f32 v3, 0x3fb8aa3b, v0, -v1
	s_delay_alu instid0(VALU_DEP_2) | instskip(NEXT) | instid1(VALU_DEP_2)
	v_sub_f32_e32 v1, v1, v2
	v_fmac_f32_e32 v3, 0x32a5705f, v0
	v_cvt_i32_f32_e32 v2, v2
	s_delay_alu instid0(VALU_DEP_2) | instskip(NEXT) | instid1(VALU_DEP_1)
	v_add_f32_e32 v1, v1, v3
	v_exp_f32_e32 v1, v1
	s_delay_alu instid0(TRANS32_DEP_1) | instskip(SKIP_1) | instid1(VALU_DEP_1)
	v_ldexp_f32 v1, v1, v2
	s_wait_alu 0xfffd
	v_cndmask_b32_e32 v1, 0, v1, vcc_lo
	v_cmp_nlt_f32_e32 vcc_lo, 0x42b17218, v0
	s_wait_alu 0xfffd
	s_delay_alu instid0(VALU_DEP_2) | instskip(NEXT) | instid1(VALU_DEP_1)
	v_cndmask_b32_e32 v0, 0x7f800000, v1, vcc_lo
	v_add_f32_e32 v0, 1.0, v0
	s_delay_alu instid0(VALU_DEP_1) | instskip(NEXT) | instid1(TRANS32_DEP_1)
	v_rcp_f32_e32 v0, v0
	v_fma_f32 v2, v0, -2.0, 1.0
.LBB19_19:                              ;   in Loop: Header=BB19_17 Depth=1
	s_wait_alu 0xfffe
	s_and_not1_saveexec_b32 s24, s24
	s_cbranch_execz .LBB19_21
; %bb.20:                               ;   in Loop: Header=BB19_17 Depth=1
	v_mul_f32_e32 v0, v51, v51
	s_delay_alu instid0(VALU_DEP_1) | instskip(NEXT) | instid1(VALU_DEP_1)
	v_fmaak_f32 v1, s3, v0, 0x3ca908c9
	v_fmaak_f32 v1, v0, v1, 0xbd5c1c4e
	s_delay_alu instid0(VALU_DEP_1) | instskip(NEXT) | instid1(VALU_DEP_1)
	v_fmaak_f32 v1, v0, v1, 0x3e088382
	v_fmaak_f32 v1, v0, v1, 0xbeaaaa99
	s_delay_alu instid0(VALU_DEP_1) | instskip(NEXT) | instid1(VALU_DEP_1)
	v_mul_f32_e64 v1, |v51|, v1
	v_fma_f32 v2, v0, v1, |v51|
.LBB19_21:                              ;   in Loop: Header=BB19_17 Depth=1
	s_wait_alu 0xfffe
	s_or_b32 exec_lo, exec_lo, s24
	v_add_nc_u32_e32 v0, s4, v4
	v_cmp_ngt_f32_e64 s24, 0x3f200000, |v52|
                                        ; implicit-def: $vgpr3
	s_delay_alu instid0(VALU_DEP_2) | instskip(NEXT) | instid1(VALU_DEP_1)
	v_ashrrev_i32_e32 v1, 31, v0
	v_lshlrev_b64_e32 v[0:1], 1, v[0:1]
	s_delay_alu instid0(VALU_DEP_1) | instskip(SKIP_1) | instid1(VALU_DEP_2)
	v_add_co_u32 v0, vcc_lo, s34, v0
	s_wait_alu 0xfffd
	v_add_co_ci_u32_e64 v1, null, s35, v1, vcc_lo
	global_load_u16 v58, v[0:1], off
	s_and_saveexec_b32 s25, s24
	s_wait_alu 0xfffe
	s_xor_b32 s24, exec_lo, s25
	s_cbranch_execz .LBB19_23
; %bb.22:                               ;   in Loop: Header=BB19_17 Depth=1
	v_add_f32_e64 v3, |v52|, |v52|
	s_delay_alu instid0(VALU_DEP_1) | instskip(SKIP_1) | instid1(VALU_DEP_2)
	v_mul_f32_e32 v53, 0x3fb8aa3b, v3
	v_cmp_ngt_f32_e32 vcc_lo, 0xc2ce8ed0, v3
	v_rndne_f32_e32 v54, v53
	v_fma_f32 v55, 0x3fb8aa3b, v3, -v53
	s_delay_alu instid0(VALU_DEP_2) | instskip(NEXT) | instid1(VALU_DEP_2)
	v_sub_f32_e32 v53, v53, v54
	v_fmac_f32_e32 v55, 0x32a5705f, v3
	v_cvt_i32_f32_e32 v54, v54
	s_delay_alu instid0(VALU_DEP_2) | instskip(NEXT) | instid1(VALU_DEP_1)
	v_add_f32_e32 v53, v53, v55
	v_exp_f32_e32 v53, v53
	s_delay_alu instid0(TRANS32_DEP_1) | instskip(SKIP_1) | instid1(VALU_DEP_1)
	v_ldexp_f32 v53, v53, v54
	s_wait_alu 0xfffd
	v_cndmask_b32_e32 v53, 0, v53, vcc_lo
	v_cmp_nlt_f32_e32 vcc_lo, 0x42b17218, v3
	s_wait_alu 0xfffd
	s_delay_alu instid0(VALU_DEP_2) | instskip(NEXT) | instid1(VALU_DEP_1)
	v_cndmask_b32_e32 v3, 0x7f800000, v53, vcc_lo
	v_add_f32_e32 v3, 1.0, v3
	s_delay_alu instid0(VALU_DEP_1) | instskip(NEXT) | instid1(TRANS32_DEP_1)
	v_rcp_f32_e32 v3, v3
	v_fma_f32 v3, v3, -2.0, 1.0
.LBB19_23:                              ;   in Loop: Header=BB19_17 Depth=1
	s_wait_alu 0xfffe
	s_and_not1_saveexec_b32 s24, s24
	s_cbranch_execz .LBB19_25
; %bb.24:                               ;   in Loop: Header=BB19_17 Depth=1
	v_mul_f32_e32 v3, v52, v52
	s_delay_alu instid0(VALU_DEP_1) | instskip(NEXT) | instid1(VALU_DEP_1)
	v_fmaak_f32 v53, s3, v3, 0x3ca908c9
	v_fmaak_f32 v53, v3, v53, 0xbd5c1c4e
	s_delay_alu instid0(VALU_DEP_1) | instskip(NEXT) | instid1(VALU_DEP_1)
	v_fmaak_f32 v53, v3, v53, 0x3e088382
	v_fmaak_f32 v53, v3, v53, 0xbeaaaa99
	s_delay_alu instid0(VALU_DEP_1) | instskip(NEXT) | instid1(VALU_DEP_1)
	v_mul_f32_e64 v53, |v52|, v53
	v_fma_f32 v3, v3, v53, |v52|
.LBB19_25:                              ;   in Loop: Header=BB19_17 Depth=1
	s_wait_alu 0xfffe
	s_or_b32 exec_lo, exec_lo, s24
	global_load_u16 v63, v[0:1], off offset:64
	v_bfi_b32 v0, 0x7fffffff, v2, v51
	v_xor_b32_e32 v55, 16, v19
	v_bfi_b32 v1, 0x7fffffff, v3, v52
	v_xor_b32_e32 v54, 8, v19
	v_xor_b32_e32 v53, 4, v19
	s_wait_loadcnt 0x1
	v_fma_mix_f32 v61, s31, v0, v58 op_sel_hi:[0,0,1]
	v_cmp_gt_i32_e32 vcc_lo, 32, v55
	v_xor_b32_e32 v52, 2, v19
	v_xor_b32_e32 v51, 1, v19
	v_cmp_ngt_f32_e64 s24, 0x3f200000, |v49|
                                        ; implicit-def: $vgpr64
	s_wait_alu 0xfffd
	v_cndmask_b32_e32 v0, v19, v55, vcc_lo
	v_cmp_gt_i32_e32 vcc_lo, 32, v54
	s_wait_alu 0xfffd
	s_delay_alu instid0(VALU_DEP_2) | instskip(SKIP_1) | instid1(VALU_DEP_2)
	v_dual_cndmask_b32 v3, v19, v54 :: v_dual_lshlrev_b32 v0, 2, v0
	v_cmp_gt_i32_e32 vcc_lo, 32, v53
	v_lshlrev_b32_e32 v59, 2, v3
	s_wait_alu 0xfffd
	v_cndmask_b32_e32 v3, v19, v53, vcc_lo
	v_cmp_gt_i32_e32 vcc_lo, 32, v52
	s_delay_alu instid0(VALU_DEP_2) | instskip(SKIP_3) | instid1(VALU_DEP_2)
	v_lshlrev_b32_e32 v57, 2, v3
	s_wait_alu 0xfffd
	v_cndmask_b32_e32 v3, v19, v52, vcc_lo
	v_cmp_gt_i32_e32 vcc_lo, 32, v51
	v_lshlrev_b32_e32 v56, 2, v3
	s_wait_alu 0xfffd
	v_cndmask_b32_e32 v3, v19, v51, vcc_lo
	s_delay_alu instid0(VALU_DEP_1) | instskip(SKIP_2) | instid1(VALU_DEP_1)
	v_lshlrev_b32_e32 v3, 2, v3
	s_wait_loadcnt 0x0
	v_fma_mix_f32 v62, s31, v1, v63 op_sel_hi:[0,0,1]
	v_dual_add_f32 v1, 0x40051340, v61 :: v_dual_add_f32 v2, 0x40051340, v62
	s_delay_alu instid0(VALU_DEP_1) | instskip(SKIP_3) | instid1(VALU_DEP_1)
	v_max3_num_f32 v1, v42, v1, v2
	ds_bpermute_b32 v2, v0, v1
	s_wait_dscnt 0x0
	v_max_num_f32_e32 v2, v2, v2
	v_max_num_f32_e32 v1, v1, v2
	ds_bpermute_b32 v2, v59, v1
	s_wait_dscnt 0x0
	v_max_num_f32_e32 v2, v2, v2
	s_delay_alu instid0(VALU_DEP_1) | instskip(SKIP_3) | instid1(VALU_DEP_1)
	v_max_num_f32_e32 v1, v1, v2
	ds_bpermute_b32 v2, v57, v1
	s_wait_dscnt 0x0
	v_max_num_f32_e32 v2, v2, v2
	v_max_num_f32_e32 v1, v1, v2
	ds_bpermute_b32 v2, v56, v1
	s_wait_dscnt 0x0
	v_max_num_f32_e32 v2, v2, v2
	s_delay_alu instid0(VALU_DEP_1)
	v_max_num_f32_e32 v1, v1, v2
	ds_bpermute_b32 v2, v3, v1
	s_and_saveexec_b32 s25, s24
	s_wait_alu 0xfffe
	s_xor_b32 s24, exec_lo, s25
	s_cbranch_execz .LBB19_27
; %bb.26:                               ;   in Loop: Header=BB19_17 Depth=1
	v_add_f32_e64 v60, |v49|, |v49|
	s_delay_alu instid0(VALU_DEP_1) | instskip(SKIP_1) | instid1(VALU_DEP_2)
	v_mul_f32_e32 v64, 0x3fb8aa3b, v60
	v_cmp_ngt_f32_e32 vcc_lo, 0xc2ce8ed0, v60
	v_rndne_f32_e32 v65, v64
	v_fma_f32 v66, 0x3fb8aa3b, v60, -v64
	s_delay_alu instid0(VALU_DEP_2) | instskip(NEXT) | instid1(VALU_DEP_2)
	v_sub_f32_e32 v64, v64, v65
	v_fmac_f32_e32 v66, 0x32a5705f, v60
	v_cvt_i32_f32_e32 v65, v65
	s_delay_alu instid0(VALU_DEP_2) | instskip(NEXT) | instid1(VALU_DEP_1)
	v_add_f32_e32 v64, v64, v66
	v_exp_f32_e32 v64, v64
	s_delay_alu instid0(TRANS32_DEP_1) | instskip(SKIP_1) | instid1(VALU_DEP_1)
	v_ldexp_f32 v64, v64, v65
	s_wait_alu 0xfffd
	v_cndmask_b32_e32 v64, 0, v64, vcc_lo
	v_cmp_nlt_f32_e32 vcc_lo, 0x42b17218, v60
	s_wait_alu 0xfffd
	s_delay_alu instid0(VALU_DEP_2) | instskip(NEXT) | instid1(VALU_DEP_1)
	v_cndmask_b32_e32 v60, 0x7f800000, v64, vcc_lo
	v_add_f32_e32 v60, 1.0, v60
	s_delay_alu instid0(VALU_DEP_1) | instskip(NEXT) | instid1(TRANS32_DEP_1)
	v_rcp_f32_e32 v60, v60
	v_fma_f32 v64, v60, -2.0, 1.0
.LBB19_27:                              ;   in Loop: Header=BB19_17 Depth=1
	s_wait_alu 0xfffe
	s_and_not1_saveexec_b32 s24, s24
	s_cbranch_execz .LBB19_29
; %bb.28:                               ;   in Loop: Header=BB19_17 Depth=1
	v_mul_f32_e32 v60, v49, v49
	s_delay_alu instid0(VALU_DEP_1) | instskip(NEXT) | instid1(VALU_DEP_1)
	v_fmaak_f32 v64, s3, v60, 0x3ca908c9
	v_fmaak_f32 v64, v60, v64, 0xbd5c1c4e
	s_delay_alu instid0(VALU_DEP_1) | instskip(NEXT) | instid1(VALU_DEP_1)
	v_fmaak_f32 v64, v60, v64, 0x3e088382
	v_fmaak_f32 v64, v60, v64, 0xbeaaaa99
	s_delay_alu instid0(VALU_DEP_1) | instskip(NEXT) | instid1(VALU_DEP_1)
	v_mul_f32_e64 v64, |v49|, v64
	v_fma_f32 v64, v60, v64, |v49|
.LBB19_29:                              ;   in Loop: Header=BB19_17 Depth=1
	s_wait_alu 0xfffe
	s_or_b32 exec_lo, exec_lo, s24
	v_cmp_ngt_f32_e64 s24, 0x3f200000, |v50|
                                        ; implicit-def: $vgpr65
	s_and_saveexec_b32 s25, s24
	s_wait_alu 0xfffe
	s_xor_b32 s24, exec_lo, s25
	s_cbranch_execz .LBB19_31
; %bb.30:                               ;   in Loop: Header=BB19_17 Depth=1
	v_add_f32_e64 v60, |v50|, |v50|
	s_delay_alu instid0(VALU_DEP_1) | instskip(SKIP_1) | instid1(VALU_DEP_2)
	v_mul_f32_e32 v65, 0x3fb8aa3b, v60
	v_cmp_ngt_f32_e32 vcc_lo, 0xc2ce8ed0, v60
	v_rndne_f32_e32 v66, v65
	v_fma_f32 v67, 0x3fb8aa3b, v60, -v65
	s_delay_alu instid0(VALU_DEP_2) | instskip(NEXT) | instid1(VALU_DEP_2)
	v_sub_f32_e32 v65, v65, v66
	v_fmac_f32_e32 v67, 0x32a5705f, v60
	v_cvt_i32_f32_e32 v66, v66
	s_delay_alu instid0(VALU_DEP_2) | instskip(NEXT) | instid1(VALU_DEP_1)
	v_add_f32_e32 v65, v65, v67
	v_exp_f32_e32 v65, v65
	s_delay_alu instid0(TRANS32_DEP_1) | instskip(SKIP_1) | instid1(VALU_DEP_1)
	v_ldexp_f32 v65, v65, v66
	s_wait_alu 0xfffd
	v_cndmask_b32_e32 v65, 0, v65, vcc_lo
	v_cmp_nlt_f32_e32 vcc_lo, 0x42b17218, v60
	s_wait_alu 0xfffd
	s_delay_alu instid0(VALU_DEP_2) | instskip(NEXT) | instid1(VALU_DEP_1)
	v_cndmask_b32_e32 v60, 0x7f800000, v65, vcc_lo
	v_add_f32_e32 v60, 1.0, v60
	s_delay_alu instid0(VALU_DEP_1) | instskip(NEXT) | instid1(TRANS32_DEP_1)
	v_rcp_f32_e32 v60, v60
	v_fma_f32 v65, v60, -2.0, 1.0
.LBB19_31:                              ;   in Loop: Header=BB19_17 Depth=1
	s_wait_alu 0xfffe
	s_and_not1_saveexec_b32 s24, s24
	s_cbranch_execz .LBB19_33
; %bb.32:                               ;   in Loop: Header=BB19_17 Depth=1
	v_mul_f32_e32 v60, v50, v50
	s_delay_alu instid0(VALU_DEP_1) | instskip(NEXT) | instid1(VALU_DEP_1)
	v_fmaak_f32 v65, s3, v60, 0x3ca908c9
	v_fmaak_f32 v65, v60, v65, 0xbd5c1c4e
	s_delay_alu instid0(VALU_DEP_1) | instskip(NEXT) | instid1(VALU_DEP_1)
	v_fmaak_f32 v65, v60, v65, 0x3e088382
	v_fmaak_f32 v65, v60, v65, 0xbeaaaa99
	s_delay_alu instid0(VALU_DEP_1) | instskip(NEXT) | instid1(VALU_DEP_1)
	v_mul_f32_e64 v65, |v50|, v65
	v_fma_f32 v65, v60, v65, |v50|
.LBB19_33:                              ;   in Loop: Header=BB19_17 Depth=1
	s_wait_alu 0xfffe
	s_or_b32 exec_lo, exec_lo, s24
	v_cvt_f32_f16_e32 v60, v58
	v_cvt_f32_f16_e32 v58, v63
	v_bfi_b32 v49, 0x7fffffff, v64, v49
	v_bfi_b32 v50, 0x7fffffff, v65, v50
	v_cmp_ngt_f32_e64 s24, 0x3f200000, |v47|
                                        ; implicit-def: $vgpr65
	s_delay_alu instid0(VALU_DEP_3) | instskip(NEXT) | instid1(VALU_DEP_3)
	v_fma_f32 v63, s31, v49, v60
	v_fma_f32 v64, s31, v50, v58
	s_delay_alu instid0(VALU_DEP_1) | instskip(NEXT) | instid1(VALU_DEP_1)
	v_dual_add_f32 v49, 0x40051340, v63 :: v_dual_add_f32 v50, 0x40051340, v64
	v_max3_num_f32 v49, v44, v49, v50
	ds_bpermute_b32 v50, v0, v49
	s_wait_dscnt 0x0
	v_max_num_f32_e32 v50, v50, v50
	s_delay_alu instid0(VALU_DEP_1) | instskip(SKIP_3) | instid1(VALU_DEP_1)
	v_max_num_f32_e32 v49, v49, v50
	ds_bpermute_b32 v50, v59, v49
	s_wait_dscnt 0x0
	v_max_num_f32_e32 v50, v50, v50
	v_max_num_f32_e32 v49, v49, v50
	ds_bpermute_b32 v50, v57, v49
	s_wait_dscnt 0x0
	v_max_num_f32_e32 v50, v50, v50
	s_delay_alu instid0(VALU_DEP_1) | instskip(SKIP_3) | instid1(VALU_DEP_1)
	v_max_num_f32_e32 v49, v49, v50
	ds_bpermute_b32 v50, v56, v49
	s_wait_dscnt 0x0
	v_max_num_f32_e32 v50, v50, v50
	v_max_num_f32_e32 v49, v49, v50
	ds_bpermute_b32 v50, v3, v49
	s_and_saveexec_b32 s25, s24
	s_wait_alu 0xfffe
	s_xor_b32 s24, exec_lo, s25
	s_cbranch_execz .LBB19_35
; %bb.34:                               ;   in Loop: Header=BB19_17 Depth=1
	v_add_f32_e64 v65, |v47|, |v47|
	s_delay_alu instid0(VALU_DEP_1) | instskip(SKIP_1) | instid1(VALU_DEP_2)
	v_mul_f32_e32 v66, 0x3fb8aa3b, v65
	v_cmp_ngt_f32_e32 vcc_lo, 0xc2ce8ed0, v65
	v_rndne_f32_e32 v67, v66
	v_fma_f32 v68, 0x3fb8aa3b, v65, -v66
	s_delay_alu instid0(VALU_DEP_2) | instskip(NEXT) | instid1(VALU_DEP_2)
	v_sub_f32_e32 v66, v66, v67
	v_fmac_f32_e32 v68, 0x32a5705f, v65
	v_cvt_i32_f32_e32 v67, v67
	s_delay_alu instid0(VALU_DEP_2) | instskip(NEXT) | instid1(VALU_DEP_1)
	v_add_f32_e32 v66, v66, v68
	v_exp_f32_e32 v66, v66
	s_delay_alu instid0(TRANS32_DEP_1) | instskip(SKIP_1) | instid1(VALU_DEP_1)
	v_ldexp_f32 v66, v66, v67
	s_wait_alu 0xfffd
	v_cndmask_b32_e32 v66, 0, v66, vcc_lo
	v_cmp_nlt_f32_e32 vcc_lo, 0x42b17218, v65
	s_wait_alu 0xfffd
	s_delay_alu instid0(VALU_DEP_2) | instskip(NEXT) | instid1(VALU_DEP_1)
	v_cndmask_b32_e32 v65, 0x7f800000, v66, vcc_lo
	v_add_f32_e32 v65, 1.0, v65
	s_delay_alu instid0(VALU_DEP_1) | instskip(NEXT) | instid1(TRANS32_DEP_1)
	v_rcp_f32_e32 v65, v65
	v_fma_f32 v65, v65, -2.0, 1.0
.LBB19_35:                              ;   in Loop: Header=BB19_17 Depth=1
	s_wait_alu 0xfffe
	s_and_not1_saveexec_b32 s24, s24
	s_cbranch_execz .LBB19_37
; %bb.36:                               ;   in Loop: Header=BB19_17 Depth=1
	v_mul_f32_e32 v65, v47, v47
	s_delay_alu instid0(VALU_DEP_1) | instskip(NEXT) | instid1(VALU_DEP_1)
	v_fmaak_f32 v66, s3, v65, 0x3ca908c9
	v_fmaak_f32 v66, v65, v66, 0xbd5c1c4e
	s_delay_alu instid0(VALU_DEP_1) | instskip(NEXT) | instid1(VALU_DEP_1)
	v_fmaak_f32 v66, v65, v66, 0x3e088382
	v_fmaak_f32 v66, v65, v66, 0xbeaaaa99
	s_delay_alu instid0(VALU_DEP_1) | instskip(NEXT) | instid1(VALU_DEP_1)
	v_mul_f32_e64 v66, |v47|, v66
	v_fma_f32 v65, v65, v66, |v47|
.LBB19_37:                              ;   in Loop: Header=BB19_17 Depth=1
	s_wait_alu 0xfffe
	s_or_b32 exec_lo, exec_lo, s24
	v_cmp_ngt_f32_e64 s24, 0x3f200000, |v48|
                                        ; implicit-def: $vgpr66
	s_and_saveexec_b32 s25, s24
	s_wait_alu 0xfffe
	s_xor_b32 s24, exec_lo, s25
	s_cbranch_execz .LBB19_39
; %bb.38:                               ;   in Loop: Header=BB19_17 Depth=1
	v_add_f32_e64 v66, |v48|, |v48|
	s_delay_alu instid0(VALU_DEP_1) | instskip(SKIP_1) | instid1(VALU_DEP_2)
	v_mul_f32_e32 v67, 0x3fb8aa3b, v66
	v_cmp_ngt_f32_e32 vcc_lo, 0xc2ce8ed0, v66
	v_rndne_f32_e32 v68, v67
	v_fma_f32 v69, 0x3fb8aa3b, v66, -v67
	s_delay_alu instid0(VALU_DEP_2) | instskip(NEXT) | instid1(VALU_DEP_2)
	v_sub_f32_e32 v67, v67, v68
	v_fmac_f32_e32 v69, 0x32a5705f, v66
	v_cvt_i32_f32_e32 v68, v68
	s_delay_alu instid0(VALU_DEP_2) | instskip(NEXT) | instid1(VALU_DEP_1)
	v_add_f32_e32 v67, v67, v69
	v_exp_f32_e32 v67, v67
	s_delay_alu instid0(TRANS32_DEP_1) | instskip(SKIP_1) | instid1(VALU_DEP_1)
	v_ldexp_f32 v67, v67, v68
	s_wait_alu 0xfffd
	v_cndmask_b32_e32 v67, 0, v67, vcc_lo
	v_cmp_nlt_f32_e32 vcc_lo, 0x42b17218, v66
	s_wait_alu 0xfffd
	s_delay_alu instid0(VALU_DEP_2) | instskip(NEXT) | instid1(VALU_DEP_1)
	v_cndmask_b32_e32 v66, 0x7f800000, v67, vcc_lo
	v_add_f32_e32 v66, 1.0, v66
	s_delay_alu instid0(VALU_DEP_1) | instskip(NEXT) | instid1(TRANS32_DEP_1)
	v_rcp_f32_e32 v66, v66
	v_fma_f32 v66, v66, -2.0, 1.0
.LBB19_39:                              ;   in Loop: Header=BB19_17 Depth=1
	s_wait_alu 0xfffe
	s_and_not1_saveexec_b32 s24, s24
	s_cbranch_execz .LBB19_41
; %bb.40:                               ;   in Loop: Header=BB19_17 Depth=1
	v_mul_f32_e32 v66, v48, v48
	s_delay_alu instid0(VALU_DEP_1) | instskip(NEXT) | instid1(VALU_DEP_1)
	v_fmaak_f32 v67, s3, v66, 0x3ca908c9
	v_fmaak_f32 v67, v66, v67, 0xbd5c1c4e
	s_delay_alu instid0(VALU_DEP_1) | instskip(NEXT) | instid1(VALU_DEP_1)
	v_fmaak_f32 v67, v66, v67, 0x3e088382
	v_fmaak_f32 v67, v66, v67, 0xbeaaaa99
	s_delay_alu instid0(VALU_DEP_1) | instskip(NEXT) | instid1(VALU_DEP_1)
	v_mul_f32_e64 v67, |v48|, v67
	v_fma_f32 v66, v66, v67, |v48|
.LBB19_41:                              ;   in Loop: Header=BB19_17 Depth=1
	s_wait_alu 0xfffe
	s_or_b32 exec_lo, exec_lo, s24
	v_bfi_b32 v47, 0x7fffffff, v65, v47
	s_delay_alu instid0(VALU_DEP_2) | instskip(SKIP_1) | instid1(VALU_DEP_3)
	v_bfi_b32 v48, 0x7fffffff, v66, v48
	v_cmp_ngt_f32_e64 s24, 0x3f200000, |v45|
                                        ; implicit-def: $vgpr67
	v_fma_f32 v47, s31, v47, v60
	s_delay_alu instid0(VALU_DEP_3) | instskip(NEXT) | instid1(VALU_DEP_1)
	v_fma_f32 v48, s31, v48, v58
	v_dual_add_f32 v65, 0x40051340, v47 :: v_dual_add_f32 v66, 0x40051340, v48
	s_delay_alu instid0(VALU_DEP_1) | instskip(SKIP_3) | instid1(VALU_DEP_1)
	v_max3_num_f32 v65, v43, v65, v66
	ds_bpermute_b32 v66, v0, v65
	s_wait_dscnt 0x0
	v_max_num_f32_e32 v66, v66, v66
	v_max_num_f32_e32 v65, v65, v66
	ds_bpermute_b32 v66, v59, v65
	s_wait_dscnt 0x0
	v_max_num_f32_e32 v66, v66, v66
	s_delay_alu instid0(VALU_DEP_1) | instskip(SKIP_3) | instid1(VALU_DEP_1)
	v_max_num_f32_e32 v65, v65, v66
	ds_bpermute_b32 v66, v57, v65
	s_wait_dscnt 0x0
	v_max_num_f32_e32 v66, v66, v66
	v_max_num_f32_e32 v65, v65, v66
	ds_bpermute_b32 v66, v56, v65
	s_wait_dscnt 0x0
	v_max_num_f32_e32 v66, v66, v66
	s_delay_alu instid0(VALU_DEP_1)
	v_max_num_f32_e32 v65, v65, v66
	ds_bpermute_b32 v66, v3, v65
	s_and_saveexec_b32 s25, s24
	s_wait_alu 0xfffe
	s_xor_b32 s24, exec_lo, s25
	s_cbranch_execz .LBB19_43
; %bb.42:                               ;   in Loop: Header=BB19_17 Depth=1
	v_add_f32_e64 v67, |v45|, |v45|
	s_delay_alu instid0(VALU_DEP_1) | instskip(SKIP_1) | instid1(VALU_DEP_2)
	v_mul_f32_e32 v68, 0x3fb8aa3b, v67
	v_cmp_ngt_f32_e32 vcc_lo, 0xc2ce8ed0, v67
	v_rndne_f32_e32 v69, v68
	v_fma_f32 v70, 0x3fb8aa3b, v67, -v68
	s_delay_alu instid0(VALU_DEP_2) | instskip(NEXT) | instid1(VALU_DEP_2)
	v_sub_f32_e32 v68, v68, v69
	v_fmac_f32_e32 v70, 0x32a5705f, v67
	v_cvt_i32_f32_e32 v69, v69
	s_delay_alu instid0(VALU_DEP_2) | instskip(NEXT) | instid1(VALU_DEP_1)
	v_add_f32_e32 v68, v68, v70
	v_exp_f32_e32 v68, v68
	s_delay_alu instid0(TRANS32_DEP_1) | instskip(SKIP_1) | instid1(VALU_DEP_1)
	v_ldexp_f32 v68, v68, v69
	s_wait_alu 0xfffd
	v_cndmask_b32_e32 v68, 0, v68, vcc_lo
	v_cmp_nlt_f32_e32 vcc_lo, 0x42b17218, v67
	s_wait_alu 0xfffd
	s_delay_alu instid0(VALU_DEP_2) | instskip(NEXT) | instid1(VALU_DEP_1)
	v_cndmask_b32_e32 v67, 0x7f800000, v68, vcc_lo
	v_add_f32_e32 v67, 1.0, v67
	s_delay_alu instid0(VALU_DEP_1) | instskip(NEXT) | instid1(TRANS32_DEP_1)
	v_rcp_f32_e32 v67, v67
	v_fma_f32 v67, v67, -2.0, 1.0
.LBB19_43:                              ;   in Loop: Header=BB19_17 Depth=1
	s_wait_alu 0xfffe
	s_and_not1_saveexec_b32 s24, s24
	s_cbranch_execz .LBB19_45
; %bb.44:                               ;   in Loop: Header=BB19_17 Depth=1
	v_mul_f32_e32 v67, v45, v45
	s_delay_alu instid0(VALU_DEP_1) | instskip(NEXT) | instid1(VALU_DEP_1)
	v_fmaak_f32 v68, s3, v67, 0x3ca908c9
	v_fmaak_f32 v68, v67, v68, 0xbd5c1c4e
	s_delay_alu instid0(VALU_DEP_1) | instskip(NEXT) | instid1(VALU_DEP_1)
	v_fmaak_f32 v68, v67, v68, 0x3e088382
	v_fmaak_f32 v68, v67, v68, 0xbeaaaa99
	s_delay_alu instid0(VALU_DEP_1) | instskip(NEXT) | instid1(VALU_DEP_1)
	v_mul_f32_e64 v68, |v45|, v68
	v_fma_f32 v67, v67, v68, |v45|
.LBB19_45:                              ;   in Loop: Header=BB19_17 Depth=1
	s_wait_alu 0xfffe
	s_or_b32 exec_lo, exec_lo, s24
	v_cmp_ngt_f32_e64 s24, 0x3f200000, |v46|
                                        ; implicit-def: $vgpr68
	s_and_saveexec_b32 s25, s24
	s_wait_alu 0xfffe
	s_xor_b32 s24, exec_lo, s25
	s_cbranch_execz .LBB19_47
; %bb.46:                               ;   in Loop: Header=BB19_17 Depth=1
	v_add_f32_e64 v68, |v46|, |v46|
	s_delay_alu instid0(VALU_DEP_1) | instskip(SKIP_1) | instid1(VALU_DEP_2)
	v_mul_f32_e32 v69, 0x3fb8aa3b, v68
	v_cmp_ngt_f32_e32 vcc_lo, 0xc2ce8ed0, v68
	v_rndne_f32_e32 v70, v69
	v_fma_f32 v71, 0x3fb8aa3b, v68, -v69
	s_delay_alu instid0(VALU_DEP_2) | instskip(NEXT) | instid1(VALU_DEP_2)
	v_sub_f32_e32 v69, v69, v70
	v_fmac_f32_e32 v71, 0x32a5705f, v68
	v_cvt_i32_f32_e32 v70, v70
	s_delay_alu instid0(VALU_DEP_2) | instskip(NEXT) | instid1(VALU_DEP_1)
	v_add_f32_e32 v69, v69, v71
	v_exp_f32_e32 v69, v69
	s_delay_alu instid0(TRANS32_DEP_1) | instskip(SKIP_1) | instid1(VALU_DEP_1)
	v_ldexp_f32 v69, v69, v70
	s_wait_alu 0xfffd
	v_cndmask_b32_e32 v69, 0, v69, vcc_lo
	v_cmp_nlt_f32_e32 vcc_lo, 0x42b17218, v68
	s_wait_alu 0xfffd
	s_delay_alu instid0(VALU_DEP_2) | instskip(NEXT) | instid1(VALU_DEP_1)
	v_cndmask_b32_e32 v68, 0x7f800000, v69, vcc_lo
	v_add_f32_e32 v68, 1.0, v68
	s_delay_alu instid0(VALU_DEP_1) | instskip(NEXT) | instid1(TRANS32_DEP_1)
	v_rcp_f32_e32 v68, v68
	v_fma_f32 v68, v68, -2.0, 1.0
.LBB19_47:                              ;   in Loop: Header=BB19_17 Depth=1
	s_wait_alu 0xfffe
	s_and_not1_saveexec_b32 s24, s24
	s_cbranch_execz .LBB19_49
; %bb.48:                               ;   in Loop: Header=BB19_17 Depth=1
	v_mul_f32_e32 v68, v46, v46
	s_delay_alu instid0(VALU_DEP_1) | instskip(NEXT) | instid1(VALU_DEP_1)
	v_fmaak_f32 v69, s3, v68, 0x3ca908c9
	v_fmaak_f32 v69, v68, v69, 0xbd5c1c4e
	s_delay_alu instid0(VALU_DEP_1) | instskip(NEXT) | instid1(VALU_DEP_1)
	v_fmaak_f32 v69, v68, v69, 0x3e088382
	v_fmaak_f32 v69, v68, v69, 0xbeaaaa99
	s_delay_alu instid0(VALU_DEP_1) | instskip(NEXT) | instid1(VALU_DEP_1)
	v_mul_f32_e64 v69, |v46|, v69
	v_fma_f32 v68, v68, v69, |v46|
.LBB19_49:                              ;   in Loop: Header=BB19_17 Depth=1
	s_wait_alu 0xfffe
	s_or_b32 exec_lo, exec_lo, s24
	v_bfi_b32 v45, 0x7fffffff, v67, v45
	s_delay_alu instid0(VALU_DEP_2)
	v_bfi_b32 v46, 0x7fffffff, v68, v46
	s_mul_u64 s[24:25], s[4:5], s[10:11]
	s_wait_dscnt 0x0
	s_wait_alu 0xfffe
	s_lshl_b64 s[24:25], s[24:25], 2
	v_dual_fmac_f32 v60, s31, v45 :: v_dual_max_num_f32 v67, v50, v50
	s_wait_alu 0xfffe
	s_add_nc_u64 s[24:25], s[8:9], s[24:25]
	v_fmac_f32_e32 v58, s31, v46
	s_wait_alu 0xfffe
	v_add_co_u32 v69, vcc_lo, s24, v9
	s_wait_alu 0xfffd
	v_add_co_ci_u32_e64 v70, null, s25, v10, vcc_lo
	v_add_co_u32 v71, vcc_lo, s24, v14
	v_dual_add_f32 v45, 0x40051340, v60 :: v_dual_add_f32 v46, 0x40051340, v58
	v_max_num_f32_e32 v65, v65, v65
	s_wait_alu 0xfffd
	v_add_co_ci_u32_e64 v72, null, s25, v15, vcc_lo
	v_add_co_u32 v69, vcc_lo, v69, v28
	s_wait_alu 0xfffd
	v_add_co_ci_u32_e64 v70, null, 0, v70, vcc_lo
	v_add_co_u32 v73, vcc_lo, v71, v28
	v_max3_num_f32 v45, v41, v45, v46
	s_wait_alu 0xfffd
	v_add_co_ci_u32_e64 v74, null, 0, v72, vcc_lo
	s_barrier_signal -1
	s_barrier_wait -1
	global_inv scope:SCOPE_SE
	s_clause 0x1
	global_load_b128 v[69:72], v[69:70], off
	global_load_b128 v[73:76], v[73:74], off
	v_dual_max_num_f32 v46, v66, v66 :: v_dual_max_num_f32 v1, v1, v1
	ds_bpermute_b32 v66, v0, v45
	v_dual_max_num_f32 v2, v2, v2 :: v_dual_add_nc_u32 v77, v24, v11
	v_dual_max_num_f32 v68, v49, v49 :: v_dual_add_nc_u32 v49, 0x3800, v11
	s_or_b32 s24, s4, 32
	s_delay_alu instid0(VALU_DEP_2)
	v_max_num_f32_e32 v0, v1, v2
	s_wait_alu 0xfffe
	s_ashr_i32 s25, s24, 31
	v_max_num_f32_e32 v1, v68, v67
	v_add_nc_u32_e32 v50, 0x3000, v11
	v_max_num_f32_e32 v2, v65, v46
	v_sub_f32_e32 v46, v61, v0
	s_delay_alu instid0(VALU_DEP_4) | instskip(SKIP_1) | instid1(VALU_DEP_4)
	v_dual_sub_f32 v61, v62, v0 :: v_dual_sub_f32 v62, v63, v1
	v_sub_f32_e32 v63, v64, v1
	v_sub_f32_e32 v48, v48, v2
	v_dual_sub_f32 v42, v42, v0 :: v_dual_sub_f32 v43, v43, v2
	s_delay_alu instid0(VALU_DEP_4)
	v_mul_f32_e32 v65, 0x3fb8aa3b, v61
	v_sub_f32_e32 v44, v44, v1
	s_wait_dscnt 0x0
	v_max_num_f32_e32 v66, v66, v66
	v_dual_mul_f32 v78, 0x3fb8aa3b, v63 :: v_dual_mul_f32 v67, 0x3fb8aa3b, v42
	v_sub_f32_e32 v47, v47, v2
	v_dual_mul_f32 v64, 0x3fb8aa3b, v46 :: v_dual_mul_f32 v81, 0x3fb8aa3b, v43
	s_delay_alu instid0(VALU_DEP_4) | instskip(NEXT) | instid1(VALU_DEP_4)
	v_max_num_f32_e32 v45, v45, v66
	v_fma_f32 v86, 0x3fb8aa3b, v42, -v67
	v_fma_f32 v90, 0x3fb8aa3b, v63, -v78
	s_delay_alu instid0(VALU_DEP_4)
	v_fma_f32 v82, 0x3fb8aa3b, v46, -v64
	v_rndne_f32_e32 v83, v64
	ds_bpermute_b32 v59, v59, v45
	v_fma_f32 v84, 0x3fb8aa3b, v61, -v65
	v_rndne_f32_e32 v85, v65
	v_rndne_f32_e32 v99, v81
	v_dual_mul_f32 v79, 0x3fb8aa3b, v44 :: v_dual_mul_f32 v68, 0x3fb8aa3b, v62
	v_rndne_f32_e32 v87, v67
	v_fma_f32 v98, 0x3fb8aa3b, v43, -v81
	v_fmac_f32_e32 v82, 0x32a5705f, v46
	v_dual_fmac_f32 v84, 0x32a5705f, v61 :: v_dual_sub_f32 v81, v81, v99
	v_dual_sub_f32 v65, v65, v85 :: v_dual_sub_f32 v64, v64, v83
	v_rndne_f32_e32 v93, v79
	v_mul_f32_e32 v66, 0x3fb8aa3b, v47
	v_rndne_f32_e32 v89, v68
	s_delay_alu instid0(VALU_DEP_4)
	v_add_f32_e32 v65, v65, v84
	v_fma_f32 v92, 0x3fb8aa3b, v44, -v79
	v_sub_f32_e32 v79, v79, v93
	v_fma_f32 v94, 0x3fb8aa3b, v47, -v66
	s_wait_dscnt 0x0
	v_dual_max_num_f32 v59, v59, v59 :: v_dual_mul_f32 v80, 0x3fb8aa3b, v48
	v_fma_f32 v88, 0x3fb8aa3b, v62, -v68
	v_cvt_i32_f32_e32 v83, v83
	v_exp_f32_e32 v65, v65
	s_delay_alu instid0(VALU_DEP_3)
	v_max_num_f32_e32 v45, v45, v59
	v_dual_sub_f32 v59, v67, v87 :: v_dual_add_f32 v64, v64, v82
	v_cvt_i32_f32_e32 v85, v85
	v_cmp_ngt_f32_e32 vcc_lo, 0xc2ce8ed0, v46
	ds_bpermute_b32 v57, v57, v45
	v_fmac_f32_e32 v86, 0x32a5705f, v42
	v_exp_f32_e32 v64, v64
	v_cvt_i32_f32_e32 v67, v87
	v_ldexp_f32 v65, v65, v85
	v_rndne_f32_e32 v91, v78
	v_fma_f32 v96, 0x3fb8aa3b, v48, -v80
	v_rndne_f32_e32 v97, v80
	v_cvt_i32_f32_e32 v87, v89
	v_rndne_f32_e32 v95, v66
	s_wait_alu 0xfffe
	s_mul_u64 s[24:25], s[24:25], s[10:11]
	v_ldexp_f32 v64, v64, v83
	v_sub_f32_e32 v80, v80, v97
	s_wait_alu 0xfffe
	s_lshl_b64 s[24:25], s[24:25], 2
	s_wait_alu 0xfffe
	s_add_nc_u64 s[24:25], s[8:9], s[24:25]
	s_wait_alu 0xfffd
	v_cndmask_b32_e32 v64, 0, v64, vcc_lo
	v_cmp_ngt_f32_e32 vcc_lo, 0xc2ce8ed0, v61
	s_wait_dscnt 0x0
	v_dual_fmac_f32 v92, 0x32a5705f, v44 :: v_dual_max_num_f32 v57, v57, v57
	v_fmac_f32_e32 v90, 0x32a5705f, v63
	v_dual_sub_f32 v68, v68, v89 :: v_dual_add_f32 v59, v59, v86
	s_wait_alu 0xfffd
	v_cndmask_b32_e32 v65, 0, v65, vcc_lo
	v_dual_max_num_f32 v45, v45, v57 :: v_dual_fmac_f32 v88, 0x32a5705f, v62
	v_add_f32_e32 v79, v79, v92
	v_exp_f32_e32 v59, v59
	v_cmp_ngt_f32_e32 vcc_lo, 0xc2ce8ed0, v42
	ds_bpermute_b32 v56, v56, v45
	v_cvt_i32_f32_e32 v89, v91
	v_exp_f32_e32 v79, v79
	v_ldexp_f32 v59, v59, v67
	s_wait_alu 0xfffd
	s_delay_alu instid0(VALU_DEP_1) | instskip(NEXT) | instid1(VALU_DEP_1)
	v_dual_fmac_f32 v96, 0x32a5705f, v48 :: v_dual_cndmask_b32 v59, 0, v59
	v_dual_sub_f32 v78, v78, v91 :: v_dual_add_f32 v57, v80, v96
	v_cmp_ngt_f32_e32 vcc_lo, 0xc2ce8ed0, v62
	v_cvt_i32_f32_e32 v91, v93
	v_cvt_i32_f32_e32 v93, v95
	s_wait_dscnt 0x0
	v_max_num_f32_e32 v56, v56, v56
	v_fmac_f32_e32 v94, 0x32a5705f, v47
	v_exp_f32_e32 v57, v57
	s_delay_alu instid0(VALU_DEP_2) | instskip(SKIP_4) | instid1(VALU_DEP_2)
	v_max_num_f32_e32 v45, v45, v56
	ds_bpermute_b32 v3, v3, v45
	s_wait_dscnt 0x0
	v_dual_add_f32 v68, v68, v88 :: v_dual_max_num_f32 v3, v3, v3
	v_add_f32_e32 v78, v78, v90
	v_exp_f32_e32 v68, v68
	s_delay_alu instid0(VALU_DEP_2) | instskip(NEXT) | instid1(VALU_DEP_2)
	v_max_num_f32_e32 v3, v45, v3
	v_exp_f32_e32 v78, v78
	s_delay_alu instid0(VALU_DEP_1) | instskip(SKIP_1) | instid1(TRANS32_DEP_2)
	v_sub_f32_e32 v41, v41, v3
	v_sub_f32_e32 v60, v60, v3
	v_ldexp_f32 v67, v68, v87
	v_sub_f32_e32 v58, v58, v3
	s_delay_alu instid0(TRANS32_DEP_1) | instskip(SKIP_1) | instid1(VALU_DEP_3)
	v_ldexp_f32 v68, v78, v89
	s_wait_alu 0xfffd
	v_cndmask_b32_e32 v56, 0, v67, vcc_lo
	v_cmp_ngt_f32_e32 vcc_lo, 0xc2ce8ed0, v63
	v_sub_f32_e32 v66, v66, v95
	v_ldexp_f32 v78, v79, v91
	v_cvt_i32_f32_e32 v95, v97
	s_wait_alu 0xfffd
	s_delay_alu instid0(VALU_DEP_3) | instskip(SKIP_1) | instid1(VALU_DEP_3)
	v_dual_cndmask_b32 v67, 0, v68 :: v_dual_add_f32 v66, v66, v94
	v_cmp_ngt_f32_e32 vcc_lo, 0xc2ce8ed0, v44
	v_ldexp_f32 v57, v57, v95
	s_delay_alu instid0(VALU_DEP_3) | instskip(SKIP_3) | instid1(TRANS32_DEP_1)
	v_exp_f32_e32 v66, v66
	s_wait_alu 0xfffd
	v_cndmask_b32_e32 v68, 0, v78, vcc_lo
	v_cmp_ngt_f32_e32 vcc_lo, 0xc2ce8ed0, v47
	v_ldexp_f32 v66, v66, v93
	s_wait_alu 0xfffd
	s_delay_alu instid0(VALU_DEP_1) | instskip(SKIP_3) | instid1(VALU_DEP_1)
	v_cndmask_b32_e32 v66, 0, v66, vcc_lo
	v_cmp_ngt_f32_e32 vcc_lo, 0xc2ce8ed0, v48
	s_wait_alu 0xfffd
	v_dual_fmac_f32 v98, 0x32a5705f, v43 :: v_dual_cndmask_b32 v57, 0, v57
	v_add_f32_e32 v80, v81, v98
	v_cvt_i32_f32_e32 v81, v99
	v_cmp_ngt_f32_e32 vcc_lo, 0xc2ce8ed0, v43
	s_delay_alu instid0(VALU_DEP_3) | instskip(NEXT) | instid1(TRANS32_DEP_1)
	v_exp_f32_e32 v80, v80
	v_ldexp_f32 v79, v80, v81
	s_wait_alu 0xfffd
	s_delay_alu instid0(VALU_DEP_1)
	v_cndmask_b32_e32 v78, 0, v79, vcc_lo
	v_cmp_nlt_f32_e32 vcc_lo, 0x42b17218, v46
	s_wait_alu 0xfffd
	v_cndmask_b32_e32 v46, 0x7f800000, v64, vcc_lo
	v_cmp_nlt_f32_e32 vcc_lo, 0x42b17218, v61
	v_mul_f32_e32 v64, 0x3fb8aa3b, v60
	s_wait_alu 0xfffd
	v_cndmask_b32_e32 v61, 0x7f800000, v65, vcc_lo
	v_cmp_nlt_f32_e32 vcc_lo, 0x42b17218, v42
	v_mul_f32_e32 v65, 0x3fb8aa3b, v41
	s_wait_alu 0xfffd
	s_delay_alu instid0(VALU_DEP_3) | instskip(SKIP_1) | instid1(VALU_DEP_3)
	v_dual_add_f32 v45, v46, v61 :: v_dual_cndmask_b32 v42, 0x7f800000, v59
	v_cmp_nlt_f32_e32 vcc_lo, 0x42b17218, v62
	v_fma_f32 v79, 0x3fb8aa3b, v41, -v65
	v_rndne_f32_e32 v80, v65
	v_cvt_f16_f32_e32 v61, v61
	v_fmac_f32_e32 v45, v40, v42
	v_cvt_f16_f32_e32 v62, v42
	v_fmac_f32_e32 v79, 0x32a5705f, v41
	s_wait_alu 0xfffd
	v_cndmask_b32_e32 v56, 0x7f800000, v56, vcc_lo
	v_cmp_nlt_f32_e32 vcc_lo, 0x42b17218, v63
	v_sub_f32_e32 v65, v65, v80
	v_cvt_i32_f32_e32 v42, v80
	v_and_b32_e32 v62, 0xffff, v62
	s_wait_alu 0xfffd
	v_cndmask_b32_e32 v59, 0x7f800000, v67, vcc_lo
	v_cmp_nlt_f32_e32 vcc_lo, 0x42b17218, v44
	v_rndne_f32_e32 v67, v64
	v_add_f32_e32 v65, v65, v79
	v_mul_u32_u24_e32 v92, 0x10001, v62
	s_wait_alu 0xfffd
	v_cndmask_b32_e32 v44, 0x7f800000, v68, vcc_lo
	v_cmp_nlt_f32_e32 vcc_lo, 0x42b17218, v47
	v_exp_f32_e32 v65, v65
	v_pk_mul_f16 v36, v36, v92
	s_delay_alu instid0(VALU_DEP_3)
	v_cvt_f16_f32_e32 v81, v44
	s_wait_alu 0xfffd
	v_cndmask_b32_e32 v47, 0x7f800000, v66, vcc_lo
	v_cmp_nlt_f32_e32 vcc_lo, 0x42b17218, v48
	v_fma_f32 v66, 0x3fb8aa3b, v60, -v64
	v_sub_f32_e32 v64, v64, v67
	v_cvt_i32_f32_e32 v67, v67
	s_wait_alu 0xfffd
	v_cndmask_b32_e32 v48, 0x7f800000, v57, vcc_lo
	v_cmp_nlt_f32_e32 vcc_lo, 0x42b17218, v43
	v_fmac_f32_e32 v66, 0x32a5705f, v60
	v_cvt_f16_f32_e32 v57, v46
	s_delay_alu instid0(VALU_DEP_2)
	v_add_f32_e32 v64, v64, v66
	v_cvt_f16_f32_e32 v66, v47
	v_add_f32_e32 v47, v47, v48
	s_wait_alu 0xfffd
	v_cndmask_b32_e32 v43, 0x7f800000, v78, vcc_lo
	v_cvt_f16_f32_e32 v48, v48
	v_exp_f32_e32 v64, v64
	s_delay_alu instid0(VALU_DEP_2) | instskip(SKIP_4) | instid1(TRANS32_DEP_1)
	v_fmac_f32_e32 v47, v38, v43
	v_cvt_f16_f32_e32 v63, v56
	v_add_f32_e32 v46, v56, v59
	v_mul_f32_e32 v56, 0x3fb8aa3b, v58
	v_cvt_f16_f32_e32 v59, v59
	v_ldexp_f32 v64, v64, v67
	s_delay_alu instid0(VALU_DEP_3) | instskip(SKIP_2) | instid1(VALU_DEP_3)
	v_fma_f32 v68, 0x3fb8aa3b, v58, -v56
	v_rndne_f32_e32 v78, v56
	v_fmac_f32_e32 v46, v39, v44
	v_fmac_f32_e32 v68, 0x32a5705f, v58
	s_delay_alu instid0(VALU_DEP_3) | instskip(SKIP_1) | instid1(VALU_DEP_2)
	v_sub_f32_e32 v56, v56, v78
	v_cvt_i32_f32_e32 v40, v78
	v_add_f32_e32 v56, v56, v68
	v_cvt_f16_f32_e32 v68, v43
	s_delay_alu instid0(VALU_DEP_2) | instskip(NEXT) | instid1(VALU_DEP_1)
	v_exp_f32_e32 v56, v56
	v_and_b32_e32 v43, 0xffff, v68
	v_cmp_ngt_f32_e32 vcc_lo, 0xc2ce8ed0, v60
	s_delay_alu instid0(VALU_DEP_2) | instskip(NEXT) | instid1(TRANS32_DEP_1)
	v_mul_u32_u24_e32 v43, 0x10001, v43
	v_ldexp_f32 v39, v56, v40
	v_ldexp_f32 v40, v65, v42
	s_wait_alu 0xfffd
	v_cndmask_b32_e32 v42, 0, v64, vcc_lo
	v_cmp_ngt_f32_e32 vcc_lo, 0xc2ce8ed0, v58
	v_pk_mul_f16 v33, v33, v43
	s_wait_alu 0xfffd
	v_cndmask_b32_e32 v39, 0, v39, vcc_lo
	v_cmp_ngt_f32_e32 vcc_lo, 0xc2ce8ed0, v41
	s_wait_alu 0xfffd
	v_cndmask_b32_e32 v40, 0, v40, vcc_lo
	v_cmp_nlt_f32_e32 vcc_lo, 0x42b17218, v60
	s_wait_alu 0xfffd
	v_cndmask_b32_e32 v44, 0x7f800000, v42, vcc_lo
	v_cmp_nlt_f32_e32 vcc_lo, 0x42b17218, v58
	v_and_b32_e32 v58, 0xffff, v81
	s_wait_alu 0xfffd
	v_cndmask_b32_e32 v56, 0x7f800000, v39, vcc_lo
	v_cmp_nlt_f32_e32 vcc_lo, 0x42b17218, v41
	v_pack_b32_f16 v39, v57, v63
	v_pack_b32_f16 v41, v61, v59
	s_delay_alu instid0(VALU_DEP_4)
	v_cvt_f16_f32_e32 v42, v56
	s_wait_alu 0xfffd
	v_cndmask_b32_e32 v60, 0x7f800000, v40, vcc_lo
	v_cvt_f16_f32_e32 v40, v44
	s_wait_alu 0xfffe
	v_add_co_u32 v128, vcc_lo, s24, v9
	v_pack_b32_f16 v42, v48, v42
	v_cvt_f16_f32_e32 v57, v60
	v_pack_b32_f16 v40, v66, v40
	ds_store_2addr_b64 v77, v[39:40], v[41:42] offset1:32
	s_wait_loadcnt 0x1
	ds_store_b128 v25, v[69:72]
	s_wait_loadcnt 0x0
	ds_store_b128 v26, v[73:76]
	s_wait_dscnt 0x0
	s_barrier_signal -1
	s_barrier_wait -1
	global_inv scope:SCOPE_SE
	ds_load_b128 v[38:41], v24
	v_dual_add_f32 v48, v44, v56 :: v_dual_and_b32 v57, 0xffff, v57
	v_mul_u32_u24_e32 v42, 0x10001, v58
	s_wait_alu 0xfffd
	v_add_co_ci_u32_e64 v129, null, s25, v10, vcc_lo
	s_delay_alu instid0(VALU_DEP_3)
	v_mul_u32_u24_e32 v44, 0x10001, v57
	ds_load_b128 v[56:59], v24 offset:16
	v_fmac_f32_e32 v48, v37, v60
	ds_load_2addr_b64 v[60:63], v50 offset1:32
	ds_load_b128 v[64:67], v24 offset:32
	ds_load_b128 v[68:71], v24 offset:48
	ds_load_2addr_b64 v[72:75], v50 offset0:64 offset1:96
	ds_load_2addr_b64 v[76:79], v50 offset0:128 offset1:160
	;; [unrolled: 1-line block ×3, first 2 shown]
	ds_load_2addr_b64 v[84:87], v49 offset1:32
	ds_load_b128 v[88:91], v24 offset:64
	v_pk_mul_f16 v35, v35, v42
	v_pk_mul_f16 v31, v31, v44
	;; [unrolled: 1-line block ×3, first 2 shown]
	v_add_co_u32 v130, vcc_lo, s24, v14
	s_wait_alu 0xfffd
	v_add_co_ci_u32_e64 v131, null, s25, v15, vcc_lo
	v_add_co_u32 v128, vcc_lo, v128, v28
	s_wait_alu 0xfffd
	v_add_co_ci_u32_e64 v129, null, 0, v129, vcc_lo
	s_wait_dscnt 0x9
	v_lshrrev_b32_e32 v37, 16, v38
	v_lshrrev_b32_e32 v44, 16, v39
	v_and_b32_e32 v38, 0xffff, v38
	v_and_b32_e32 v39, 0xffff, v39
	v_lshrrev_b32_e32 v93, 16, v40
	v_mul_u32_u24_e32 v37, 0x10001, v37
	v_lshrrev_b32_e32 v94, 16, v41
	v_mul_u32_u24_e32 v38, 0x10001, v38
	v_mul_u32_u24_e32 v39, 0x10001, v39
	v_and_b32_e32 v40, 0xffff, v40
	v_and_b32_e32 v41, 0xffff, v41
	v_mul_u32_u24_e32 v44, 0x10001, v44
	s_wait_dscnt 0x7
	v_pk_mul_f16 v107, v60, v38
	v_pk_mul_f16 v108, v60, v37
	;; [unrolled: 1-line block ×3, first 2 shown]
	v_lshrrev_b32_e32 v95, 16, v56
	v_lshrrev_b32_e32 v96, 16, v57
	v_and_b32_e32 v56, 0xffff, v56
	v_and_b32_e32 v57, 0xffff, v57
	v_mul_u32_u24_e32 v40, 0x10001, v40
	v_mul_u32_u24_e32 v93, 0x10001, v93
	;; [unrolled: 1-line block ×4, first 2 shown]
	v_pk_fma_f16 v31, v60, v44, v31
	v_pk_fma_f16 v35, v61, v37, v35
	;; [unrolled: 1-line block ×6, first 2 shown]
	v_lshrrev_b32_e32 v97, 16, v58
	v_lshrrev_b32_e32 v98, 16, v59
	v_and_b32_e32 v58, 0xffff, v58
	v_and_b32_e32 v59, 0xffff, v59
	v_mul_u32_u24_e32 v56, 0x10001, v56
	v_mul_u32_u24_e32 v95, 0x10001, v95
	v_mul_u32_u24_e32 v57, 0x10001, v57
	v_mul_u32_u24_e32 v96, 0x10001, v96
	v_pk_fma_f16 v36, v61, v38, v36
	v_pk_fma_f16 v33, v61, v39, v33
	;; [unrolled: 1-line block ×8, first 2 shown]
	s_wait_dscnt 0x6
	v_lshrrev_b32_e32 v99, 16, v64
	v_lshrrev_b32_e32 v100, 16, v65
	v_and_b32_e32 v64, 0xffff, v64
	v_and_b32_e32 v65, 0xffff, v65
	v_mul_u32_u24_e32 v58, 0x10001, v58
	v_mul_u32_u24_e32 v97, 0x10001, v97
	;; [unrolled: 1-line block ×4, first 2 shown]
	v_pk_fma_f16 v36, v63, v40, v36
	v_pk_fma_f16 v33, v63, v41, v33
	s_wait_dscnt 0x4
	v_pk_fma_f16 v31, v72, v96, v31
	v_pk_fma_f16 v35, v73, v95, v35
	;; [unrolled: 1-line block ×6, first 2 shown]
	v_lshrrev_b32_e32 v101, 16, v66
	v_lshrrev_b32_e32 v102, 16, v67
	v_and_b32_e32 v66, 0xffff, v66
	v_and_b32_e32 v67, 0xffff, v67
	v_mul_u32_u24_e32 v64, 0x10001, v64
	v_mul_u32_u24_e32 v99, 0x10001, v99
	;; [unrolled: 1-line block ×4, first 2 shown]
	v_pk_fma_f16 v36, v73, v56, v36
	v_pk_fma_f16 v33, v73, v57, v33
	;; [unrolled: 1-line block ×8, first 2 shown]
	v_lshrrev_b32_e32 v103, 16, v68
	v_lshrrev_b32_e32 v104, 16, v69
	v_and_b32_e32 v68, 0xffff, v68
	v_and_b32_e32 v69, 0xffff, v69
	v_mul_u32_u24_e32 v66, 0x10001, v66
	v_mul_u32_u24_e32 v101, 0x10001, v101
	;; [unrolled: 1-line block ×4, first 2 shown]
	v_pk_fma_f16 v36, v75, v58, v36
	v_pk_fma_f16 v33, v75, v59, v33
	s_wait_dscnt 0x3
	v_pk_fma_f16 v31, v76, v100, v31
	v_pk_fma_f16 v35, v77, v99, v35
	;; [unrolled: 1-line block ×6, first 2 shown]
	v_lshrrev_b32_e32 v105, 16, v70
	v_lshrrev_b32_e32 v106, 16, v71
	v_and_b32_e32 v70, 0xffff, v70
	v_and_b32_e32 v71, 0xffff, v71
	v_mul_u32_u24_e32 v68, 0x10001, v68
	v_mul_u32_u24_e32 v103, 0x10001, v103
	;; [unrolled: 1-line block ×4, first 2 shown]
	v_pk_fma_f16 v36, v77, v64, v36
	v_pk_fma_f16 v33, v77, v65, v33
	;; [unrolled: 1-line block ×8, first 2 shown]
	v_mul_u32_u24_e32 v70, 0x10001, v70
	v_mul_u32_u24_e32 v105, 0x10001, v105
	v_mul_u32_u24_e32 v71, 0x10001, v71
	v_mul_u32_u24_e32 v106, 0x10001, v106
	v_pk_fma_f16 v36, v79, v66, v36
	v_pk_fma_f16 v33, v79, v67, v33
	s_wait_dscnt 0x2
	v_pk_fma_f16 v31, v80, v104, v31
	v_pk_fma_f16 v35, v81, v103, v35
	;; [unrolled: 1-line block ×6, first 2 shown]
	s_wait_dscnt 0x0
	v_lshrrev_b32_e32 v42, 16, v88
	v_lshrrev_b32_e32 v44, 16, v89
	v_pk_fma_f16 v36, v81, v68, v36
	v_pk_fma_f16 v33, v81, v69, v33
	;; [unrolled: 1-line block ×7, first 2 shown]
	ds_load_b128 v[29:32], v24 offset:80
	v_and_b32_e32 v41, 0xffff, v88
	v_and_b32_e32 v43, 0xffff, v89
	v_mul_u32_u24_e32 v42, 0x10001, v42
	v_mul_u32_u24_e32 v44, 0x10001, v44
	v_pk_fma_f16 v36, v83, v70, v36
	v_pk_fma_f16 v33, v83, v71, v33
	v_mul_u32_u24_e32 v41, 0x10001, v41
	v_mul_u32_u24_e32 v43, 0x10001, v43
	v_pk_fma_f16 v39, v84, v42, v39
	v_pk_fma_f16 v56, v84, v44, v34
	v_pk_fma_f16 v42, v85, v42, v35
	v_and_b32_e32 v34, 0xffff, v90
	v_lshrrev_b32_e32 v35, 16, v90
	v_pk_fma_f16 v38, v84, v41, v38
	v_pk_fma_f16 v40, v84, v43, v40
	;; [unrolled: 1-line block ×4, first 2 shown]
	v_lshrrev_b32_e32 v58, 16, v91
	v_mul_u32_u24_e32 v59, 0x10001, v34
	v_mul_u32_u24_e32 v60, 0x10001, v35
	ds_load_2addr_b64 v[33:36], v49 offset0:64 offset1:96
	v_pk_fma_f16 v37, v83, v106, v37
	v_mul_u32_u24_e32 v58, 0x10001, v58
	v_and_b32_e32 v57, 0xffff, v91
	v_pk_fma_f16 v38, v86, v59, v38
	v_pk_fma_f16 v39, v86, v60, v39
	;; [unrolled: 1-line block ×4, first 2 shown]
	s_wait_dscnt 0x1
	v_and_b32_e32 v56, 0xffff, v29
	v_lshrrev_b32_e32 v29, 16, v29
	v_mul_u32_u24_e32 v57, 0x10001, v57
	v_pk_fma_f16 v41, v87, v59, v41
	v_pk_fma_f16 v42, v87, v60, v42
	v_and_b32_e32 v59, 0xffff, v30
	v_lshrrev_b32_e32 v30, 16, v30
	v_mul_u32_u24_e32 v29, 0x10001, v29
	v_add_co_u32 v132, vcc_lo, v130, v28
	v_pk_fma_f16 v40, v86, v57, v40
	v_pk_fma_f16 v136, v87, v57, v43
	v_mul_u32_u24_e32 v43, 0x10001, v56
	v_mul_u32_u24_e32 v137, 0x10001, v59
	;; [unrolled: 1-line block ×3, first 2 shown]
	s_wait_dscnt 0x0
	v_pk_fma_f16 v141, v33, v29, v39
	v_pk_fma_f16 v144, v34, v29, v42
	v_add_nc_u32_e32 v30, 0x4000, v11
	v_add_nc_u32_e32 v29, 0x4800, v11
	s_wait_alu 0xfffd
	v_add_co_ci_u32_e64 v133, null, 0, v131, vcc_lo
	v_pk_fma_f16 v139, v87, v58, v37
	v_pk_fma_f16 v140, v33, v43, v38
	;; [unrolled: 1-line block ×5, first 2 shown]
	ds_load_2addr_b64 v[37:40], v49 offset0:128 offset1:160
	ds_load_2addr_b64 v[41:44], v49 offset0:192 offset1:224
	ds_load_b128 v[56:59], v24 offset:96
	ds_load_b128 v[60:63], v24 offset:112
	ds_load_2addr_b64 v[64:67], v30 offset1:32
	ds_load_2addr_b64 v[68:71], v30 offset0:64 offset1:96
	ds_load_b128 v[72:75], v24 offset:128
	ds_load_b128 v[76:79], v24 offset:144
	ds_load_2addr_b64 v[80:83], v30 offset0:128 offset1:160
	ds_load_2addr_b64 v[84:87], v30 offset0:192 offset1:224
	ds_load_b128 v[88:91], v24 offset:160
	ds_load_b128 v[92:95], v24 offset:176
	ds_load_2addr_b64 v[96:99], v29 offset1:32
	ds_load_2addr_b64 v[100:103], v29 offset0:64 offset1:96
	ds_load_b128 v[104:107], v24 offset:192
	ds_load_b128 v[108:111], v24 offset:208
	ds_load_2addr_b64 v[112:115], v29 offset0:128 offset1:160
	ds_load_2addr_b64 v[116:119], v29 offset0:192 offset1:224
	ds_load_b128 v[120:123], v24 offset:224
	ds_load_b128 v[124:127], v24 offset:240
	s_wait_loadcnt_dscnt 0x0
	s_barrier_signal -1
	s_barrier_wait -1
	global_inv scope:SCOPE_SE
	s_clause 0x1
	global_load_b128 v[128:131], v[128:129], off
	global_load_b128 v[132:135], v[132:133], off
	v_lshrrev_b32_e32 v145, 16, v31
	v_and_b32_e32 v31, 0xffff, v31
	v_and_b32_e32 v146, 0xffff, v32
	v_lshrrev_b32_e32 v32, 16, v32
	v_pk_fma_f16 v136, v34, v137, v136
	v_mul_u32_u24_e32 v137, 0x10001, v145
	v_mul_u32_u24_e32 v31, 0x10001, v31
	;; [unrolled: 1-line block ×4, first 2 shown]
	v_pk_fma_f16 v34, v34, v138, v139
	v_pk_fma_f16 v139, v35, v137, v141
	;; [unrolled: 1-line block ×6, first 2 shown]
	v_and_b32_e32 v137, 0xffff, v56
	v_lshrrev_b32_e32 v56, 16, v56
	v_and_b32_e32 v141, 0xffff, v57
	v_lshrrev_b32_e32 v57, 16, v57
	v_pk_fma_f16 v31, v36, v31, v143
	v_mul_u32_u24_e32 v137, 0x10001, v137
	v_mul_u32_u24_e32 v56, 0x10001, v56
	;; [unrolled: 1-line block ×4, first 2 shown]
	v_pk_fma_f16 v136, v36, v145, v136
	v_pk_fma_f16 v32, v36, v32, v34
	;; [unrolled: 1-line block ×6, first 2 shown]
	v_and_b32_e32 v37, 0xffff, v58
	v_pk_fma_f16 v31, v38, v137, v31
	v_pk_fma_f16 v35, v38, v56, v35
	v_lshrrev_b32_e32 v56, 16, v58
	v_and_b32_e32 v58, 0xffff, v59
	v_lshrrev_b32_e32 v59, 16, v59
	v_mul_u32_u24_e32 v37, 0x10001, v37
	v_pk_fma_f16 v136, v38, v141, v136
	v_mul_u32_u24_e32 v56, 0x10001, v56
	v_mul_u32_u24_e32 v58, 0x10001, v58
	;; [unrolled: 1-line block ×3, first 2 shown]
	v_pk_fma_f16 v34, v39, v37, v34
	v_pk_fma_f16 v31, v40, v37, v31
	v_and_b32_e32 v37, 0xffff, v60
	v_pk_fma_f16 v32, v38, v57, v32
	v_pk_fma_f16 v36, v39, v56, v36
	;; [unrolled: 1-line block ×4, first 2 shown]
	v_lshrrev_b32_e32 v39, 16, v60
	v_mul_u32_u24_e32 v37, 0x10001, v37
	v_pk_fma_f16 v35, v40, v56, v35
	v_and_b32_e32 v56, 0xffff, v61
	v_lshrrev_b32_e32 v57, 16, v61
	v_mul_u32_u24_e32 v39, 0x10001, v39
	v_pk_fma_f16 v34, v41, v37, v34
	v_pk_fma_f16 v31, v42, v37, v31
	v_and_b32_e32 v37, 0xffff, v62
	v_mul_u32_u24_e32 v56, 0x10001, v56
	v_pk_fma_f16 v36, v41, v39, v36
	v_pk_fma_f16 v35, v42, v39, v35
	v_lshrrev_b32_e32 v39, 16, v62
	v_mul_u32_u24_e32 v37, 0x10001, v37
	v_mul_u32_u24_e32 v57, 0x10001, v57
	v_pk_fma_f16 v58, v40, v58, v136
	v_pk_fma_f16 v32, v40, v59, v32
	v_mul_u32_u24_e32 v39, 0x10001, v39
	v_pk_fma_f16 v34, v43, v37, v34
	v_pk_fma_f16 v31, v44, v37, v31
	v_and_b32_e32 v37, 0xffff, v72
	v_pk_fma_f16 v38, v41, v56, v38
	v_pk_fma_f16 v36, v43, v39, v36
	;; [unrolled: 1-line block ×3, first 2 shown]
	v_lshrrev_b32_e32 v39, 16, v72
	v_mul_u32_u24_e32 v37, 0x10001, v37
	v_pk_fma_f16 v33, v41, v57, v33
	v_and_b32_e32 v40, 0xffff, v63
	v_lshrrev_b32_e32 v41, 16, v63
	v_mul_u32_u24_e32 v39, 0x10001, v39
	v_pk_fma_f16 v34, v64, v37, v34
	v_pk_fma_f16 v31, v65, v37, v31
	v_and_b32_e32 v37, 0xffff, v74
	v_mul_u32_u24_e32 v40, 0x10001, v40
	v_pk_fma_f16 v36, v64, v39, v36
	v_pk_fma_f16 v35, v65, v39, v35
	v_lshrrev_b32_e32 v39, 16, v74
	v_mul_u32_u24_e32 v37, 0x10001, v37
	v_mul_u32_u24_e32 v41, 0x10001, v41
	v_pk_fma_f16 v56, v42, v56, v58
	v_pk_fma_f16 v32, v42, v57, v32
	v_mul_u32_u24_e32 v39, 0x10001, v39
	v_pk_fma_f16 v34, v66, v37, v34
	v_pk_fma_f16 v31, v67, v37, v31
	v_and_b32_e32 v37, 0xffff, v76
	v_pk_fma_f16 v38, v43, v40, v38
	v_pk_fma_f16 v36, v66, v39, v36
	;; [unrolled: 1-line block ×3, first 2 shown]
	v_lshrrev_b32_e32 v39, 16, v76
	v_mul_u32_u24_e32 v37, 0x10001, v37
	v_pk_fma_f16 v33, v43, v41, v33
	v_and_b32_e32 v42, 0xffff, v73
	v_lshrrev_b32_e32 v43, 16, v73
	v_mul_u32_u24_e32 v39, 0x10001, v39
	v_pk_fma_f16 v34, v68, v37, v34
	v_pk_fma_f16 v31, v69, v37, v31
	v_and_b32_e32 v37, 0xffff, v78
	v_pk_fma_f16 v40, v44, v40, v56
	v_pk_fma_f16 v36, v68, v39, v36
	;; [unrolled: 1-line block ×3, first 2 shown]
	v_lshrrev_b32_e32 v39, 16, v78
	v_mul_u32_u24_e32 v37, 0x10001, v37
	v_mul_u32_u24_e32 v42, 0x10001, v42
	;; [unrolled: 1-line block ×3, first 2 shown]
	v_pk_fma_f16 v32, v44, v41, v32
	v_mul_u32_u24_e32 v39, 0x10001, v39
	v_pk_fma_f16 v34, v70, v37, v34
	v_pk_fma_f16 v31, v71, v37, v31
	v_and_b32_e32 v37, 0xffff, v88
	v_and_b32_e32 v41, 0xffff, v75
	v_pk_fma_f16 v36, v70, v39, v36
	v_pk_fma_f16 v35, v71, v39, v35
	v_lshrrev_b32_e32 v39, 16, v88
	v_mul_u32_u24_e32 v37, 0x10001, v37
	v_lshrrev_b32_e32 v44, 16, v75
	v_pk_fma_f16 v38, v64, v42, v38
	v_pk_fma_f16 v33, v64, v43, v33
	v_mul_u32_u24_e32 v39, 0x10001, v39
	v_pk_fma_f16 v34, v80, v37, v34
	v_pk_fma_f16 v31, v81, v37, v31
	v_and_b32_e32 v37, 0xffff, v90
	v_pk_fma_f16 v40, v65, v42, v40
	v_pk_fma_f16 v36, v80, v39, v36
	;; [unrolled: 1-line block ×3, first 2 shown]
	v_lshrrev_b32_e32 v39, 16, v90
	v_mul_u32_u24_e32 v37, 0x10001, v37
	v_mul_u32_u24_e32 v41, 0x10001, v41
	;; [unrolled: 1-line block ×3, first 2 shown]
	v_pk_fma_f16 v32, v65, v43, v32
	v_mul_u32_u24_e32 v39, 0x10001, v39
	v_pk_fma_f16 v34, v82, v37, v34
	v_pk_fma_f16 v31, v83, v37, v31
	v_and_b32_e32 v37, 0xffff, v92
	v_and_b32_e32 v43, 0xffff, v77
	v_pk_fma_f16 v36, v82, v39, v36
	v_pk_fma_f16 v35, v83, v39, v35
	v_lshrrev_b32_e32 v39, 16, v92
	v_mul_u32_u24_e32 v37, 0x10001, v37
	v_lshrrev_b32_e32 v44, 16, v77
	v_pk_fma_f16 v38, v66, v41, v38
	v_pk_fma_f16 v33, v66, v42, v33
	v_mul_u32_u24_e32 v39, 0x10001, v39
	v_pk_fma_f16 v34, v84, v37, v34
	v_pk_fma_f16 v31, v85, v37, v31
	v_and_b32_e32 v37, 0xffff, v94
	v_pk_fma_f16 v40, v67, v41, v40
	v_pk_fma_f16 v36, v84, v39, v36
	;; [unrolled: 1-line block ×3, first 2 shown]
	v_lshrrev_b32_e32 v39, 16, v94
	v_mul_u32_u24_e32 v37, 0x10001, v37
	v_mul_u32_u24_e32 v41, 0x10001, v43
	;; [unrolled: 1-line block ×3, first 2 shown]
	v_pk_fma_f16 v32, v67, v42, v32
	v_mul_u32_u24_e32 v39, 0x10001, v39
	v_pk_fma_f16 v34, v86, v37, v34
	v_pk_fma_f16 v31, v87, v37, v31
	v_and_b32_e32 v37, 0xffff, v104
	v_and_b32_e32 v42, 0xffff, v79
	v_lshrrev_b32_e32 v44, 16, v79
	v_pk_fma_f16 v36, v86, v39, v36
	v_pk_fma_f16 v35, v87, v39, v35
	v_lshrrev_b32_e32 v39, 16, v104
	v_mul_u32_u24_e32 v37, 0x10001, v37
	v_pk_fma_f16 v38, v68, v41, v38
	v_pk_fma_f16 v33, v68, v43, v33
	v_pk_fma_f16 v40, v69, v41, v40
	v_mul_u32_u24_e32 v41, 0x10001, v42
	v_mul_u32_u24_e32 v42, 0x10001, v44
	v_pk_fma_f16 v32, v69, v43, v32
	v_and_b32_e32 v43, 0xffff, v89
	v_lshrrev_b32_e32 v44, 16, v89
	v_mul_u32_u24_e32 v39, 0x10001, v39
	v_pk_fma_f16 v34, v96, v37, v34
	v_pk_fma_f16 v31, v97, v37, v31
	v_and_b32_e32 v37, 0xffff, v106
	v_pk_fma_f16 v38, v70, v41, v38
	v_pk_fma_f16 v33, v70, v42, v33
	v_pk_fma_f16 v40, v71, v41, v40
	v_mul_u32_u24_e32 v41, 0x10001, v43
	v_mul_u32_u24_e32 v43, 0x10001, v44
	v_pk_fma_f16 v32, v71, v42, v32
	v_and_b32_e32 v42, 0xffff, v91
	v_lshrrev_b32_e32 v44, 16, v91
	v_pk_fma_f16 v36, v96, v39, v36
	v_pk_fma_f16 v35, v97, v39, v35
	v_lshrrev_b32_e32 v39, 16, v106
	v_mul_u32_u24_e32 v37, 0x10001, v37
	v_pk_fma_f16 v38, v80, v41, v38
	v_pk_fma_f16 v33, v80, v43, v33
	v_pk_fma_f16 v40, v81, v41, v40
	v_mul_u32_u24_e32 v41, 0x10001, v42
	v_mul_u32_u24_e32 v42, 0x10001, v44
	v_pk_fma_f16 v32, v81, v43, v32
	v_and_b32_e32 v43, 0xffff, v93
	v_lshrrev_b32_e32 v44, 16, v93
	v_mul_u32_u24_e32 v39, 0x10001, v39
	v_pk_fma_f16 v34, v98, v37, v34
	v_pk_fma_f16 v31, v99, v37, v31
	v_and_b32_e32 v37, 0xffff, v108
	v_pk_fma_f16 v38, v82, v41, v38
	v_pk_fma_f16 v33, v82, v42, v33
	v_pk_fma_f16 v40, v83, v41, v40
	v_mul_u32_u24_e32 v41, 0x10001, v43
	v_mul_u32_u24_e32 v43, 0x10001, v44
	v_pk_fma_f16 v32, v83, v42, v32
	;; [unrolled: 24-line block ×5, first 2 shown]
	v_pk_fma_f16 v36, v112, v39, v36
	v_pk_fma_f16 v35, v113, v39, v35
	v_lshrrev_b32_e32 v39, 16, v122
	v_and_b32_e32 v42, 0xffff, v123
	v_lshrrev_b32_e32 v44, 16, v123
	v_mul_u32_u24_e32 v37, 0x10001, v37
	v_pk_fma_f16 v38, v112, v41, v38
	v_pk_fma_f16 v33, v112, v43, v33
	;; [unrolled: 1-line block ×3, first 2 shown]
	v_mul_u32_u24_e32 v39, 0x10001, v39
	v_mul_u32_u24_e32 v41, 0x10001, v42
	;; [unrolled: 1-line block ×3, first 2 shown]
	v_pk_fma_f16 v32, v113, v43, v32
	v_pk_fma_f16 v34, v114, v37, v34
	;; [unrolled: 1-line block ×3, first 2 shown]
	v_and_b32_e32 v37, 0xffff, v124
	v_and_b32_e32 v43, 0xffff, v125
	v_lshrrev_b32_e32 v44, 16, v125
	v_pk_fma_f16 v36, v114, v39, v36
	v_pk_fma_f16 v38, v114, v41, v38
	;; [unrolled: 1-line block ×4, first 2 shown]
	v_lshrrev_b32_e32 v39, 16, v124
	v_pk_fma_f16 v40, v115, v41, v40
	v_mul_u32_u24_e32 v37, 0x10001, v37
	v_mul_u32_u24_e32 v41, 0x10001, v43
	;; [unrolled: 1-line block ×4, first 2 shown]
	v_pk_fma_f16 v42, v115, v42, v32
	v_pk_fma_f16 v44, v116, v37, v34
	v_pk_fma_f16 v59, v117, v37, v31
	v_pk_fma_f16 v58, v116, v43, v33
	s_wait_loadcnt 0x1
	ds_store_b128 v25, v[128:131]
	s_wait_loadcnt 0x0
	ds_store_b128 v26, v[132:135]
	s_wait_dscnt 0x0
	s_barrier_signal -1
	s_barrier_wait -1
	global_inv scope:SCOPE_SE
	ds_load_b128 v[31:34], v24 offset:256
	v_pk_fma_f16 v56, v116, v39, v36
	v_pk_fma_f16 v57, v116, v41, v38
	;; [unrolled: 1-line block ×3, first 2 shown]
	v_and_b32_e32 v35, 0xffff, v126
	v_lshrrev_b32_e32 v36, 16, v126
	v_and_b32_e32 v37, 0xffff, v127
	v_lshrrev_b32_e32 v38, 16, v127
	v_pk_fma_f16 v40, v117, v41, v40
	v_pk_fma_f16 v43, v117, v43, v42
	v_mul_u32_u24_e32 v41, 0x10001, v35
	v_mul_u32_u24_e32 v42, 0x10001, v36
	;; [unrolled: 1-line block ×4, first 2 shown]
	ds_load_2addr_b64 v[35:38], v50 offset1:32
	v_pk_fma_f16 v44, v118, v41, v44
	v_pk_fma_f16 v64, v118, v42, v56
	;; [unrolled: 1-line block ×6, first 2 shown]
	ds_load_b128 v[39:42], v24 offset:272
	s_wait_dscnt 0x2
	v_and_b32_e32 v56, 0xffff, v31
	v_lshrrev_b32_e32 v31, 16, v31
	v_and_b32_e32 v57, 0xffff, v32
	v_lshrrev_b32_e32 v32, 16, v32
	v_pk_fma_f16 v66, v118, v61, v58
	v_mul_u32_u24_e32 v70, 0x10001, v56
	v_mul_u32_u24_e32 v31, 0x10001, v31
	;; [unrolled: 1-line block ×4, first 2 shown]
	v_lshrrev_b32_e32 v32, 16, v33
	v_pk_fma_f16 v43, v119, v61, v43
	ds_load_b128 v[56:59], v24 offset:288
	ds_load_b128 v[60:63], v24 offset:304
	s_wait_dscnt 0x3
	v_pk_fma_f16 v44, v35, v70, v44
	v_pk_fma_f16 v64, v35, v31, v64
	;; [unrolled: 1-line block ×6, first 2 shown]
	v_and_b32_e32 v31, 0xffff, v33
	v_pk_fma_f16 v68, v36, v71, v69
	v_and_b32_e32 v69, 0xffff, v34
	v_lshrrev_b32_e32 v70, 16, v34
	v_mul_u32_u24_e32 v73, 0x10001, v32
	v_mul_u32_u24_e32 v71, 0x10001, v31
	ds_load_2addr_b64 v[31:34], v50 offset0:64 offset1:96
	v_mul_u32_u24_e32 v69, 0x10001, v69
	v_mul_u32_u24_e32 v70, 0x10001, v70
	v_pk_fma_f16 v36, v36, v72, v43
	v_pk_fma_f16 v43, v37, v71, v44
	;; [unrolled: 1-line block ×7, first 2 shown]
	s_wait_dscnt 0x3
	v_and_b32_e32 v66, 0xffff, v39
	v_lshrrev_b32_e32 v39, 16, v39
	v_and_b32_e32 v67, 0xffff, v40
	v_lshrrev_b32_e32 v40, 16, v40
	v_pk_fma_f16 v68, v38, v69, v68
	v_mul_u32_u24_e32 v66, 0x10001, v66
	v_mul_u32_u24_e32 v39, 0x10001, v39
	;; [unrolled: 1-line block ×4, first 2 shown]
	v_pk_fma_f16 v69, v38, v70, v36
	s_wait_dscnt 0x0
	v_pk_fma_f16 v43, v31, v66, v43
	v_pk_fma_f16 v44, v31, v39, v44
	;; [unrolled: 1-line block ×4, first 2 shown]
	v_and_b32_e32 v35, 0xffff, v41
	v_lshrrev_b32_e32 v36, 16, v41
	v_pk_fma_f16 v66, v32, v66, v37
	v_pk_fma_f16 v39, v32, v39, v65
	;; [unrolled: 1-line block ×3, first 2 shown]
	v_and_b32_e32 v65, 0xffff, v42
	v_lshrrev_b32_e32 v42, 16, v42
	v_mul_u32_u24_e32 v67, 0x10001, v35
	v_mul_u32_u24_e32 v68, 0x10001, v36
	ds_load_2addr_b64 v[35:38], v50 offset0:128 offset1:160
	v_mul_u32_u24_e32 v65, 0x10001, v65
	v_mul_u32_u24_e32 v42, 0x10001, v42
	v_pk_fma_f16 v32, v32, v40, v69
	v_pk_fma_f16 v40, v33, v67, v43
	;; [unrolled: 1-line block ×6, first 2 shown]
	v_and_b32_e32 v64, 0xffff, v56
	v_lshrrev_b32_e32 v56, 16, v56
	v_and_b32_e32 v66, 0xffff, v57
	v_lshrrev_b32_e32 v57, 16, v57
	v_pk_fma_f16 v41, v34, v65, v41
	v_mul_u32_u24_e32 v64, 0x10001, v64
	v_mul_u32_u24_e32 v56, 0x10001, v56
	;; [unrolled: 1-line block ×4, first 2 shown]
	v_pk_fma_f16 v39, v34, v68, v39
	v_pk_fma_f16 v42, v34, v42, v32
	s_wait_dscnt 0x0
	v_pk_fma_f16 v40, v35, v64, v40
	v_pk_fma_f16 v43, v35, v56, v43
	;; [unrolled: 1-line block ×4, first 2 shown]
	v_and_b32_e32 v31, 0xffff, v58
	v_lshrrev_b32_e32 v32, 16, v58
	v_pk_fma_f16 v64, v36, v64, v33
	v_pk_fma_f16 v39, v36, v56, v39
	;; [unrolled: 1-line block ×3, first 2 shown]
	v_and_b32_e32 v56, 0xffff, v59
	v_lshrrev_b32_e32 v58, 16, v59
	v_mul_u32_u24_e32 v59, 0x10001, v31
	v_mul_u32_u24_e32 v65, 0x10001, v32
	ds_load_2addr_b64 v[31:34], v50 offset0:192 offset1:224
	v_mul_u32_u24_e32 v50, 0x10001, v56
	v_mul_u32_u24_e32 v56, 0x10001, v58
	v_pk_fma_f16 v36, v36, v57, v42
	v_pk_fma_f16 v40, v37, v59, v40
	;; [unrolled: 1-line block ×6, first 2 shown]
	v_and_b32_e32 v44, 0xffff, v60
	v_lshrrev_b32_e32 v57, 16, v60
	v_and_b32_e32 v58, 0xffff, v61
	v_lshrrev_b32_e32 v59, 16, v61
	v_pk_fma_f16 v41, v38, v50, v41
	v_mul_u32_u24_e32 v44, 0x10001, v44
	v_mul_u32_u24_e32 v50, 0x10001, v57
	;; [unrolled: 1-line block ×4, first 2 shown]
	v_pk_fma_f16 v39, v38, v65, v39
	v_pk_fma_f16 v56, v38, v56, v36
	s_wait_dscnt 0x0
	v_pk_fma_f16 v59, v31, v44, v40
	v_pk_fma_f16 v60, v31, v50, v42
	;; [unrolled: 1-line block ×5, first 2 shown]
	ds_load_b128 v[35:38], v24 offset:320
	v_pk_fma_f16 v50, v32, v50, v39
	v_and_b32_e32 v39, 0xffff, v62
	v_lshrrev_b32_e32 v40, 16, v62
	v_and_b32_e32 v42, 0xffff, v63
	v_pk_fma_f16 v61, v32, v57, v41
	v_lshrrev_b32_e32 v57, 16, v63
	v_mul_u32_u24_e32 v62, 0x10001, v39
	v_mul_u32_u24_e32 v63, 0x10001, v40
	;; [unrolled: 1-line block ×3, first 2 shown]
	ds_load_2addr_b64 v[39:42], v49 offset1:32
	v_mul_u32_u24_e32 v65, 0x10001, v57
	v_pk_fma_f16 v32, v32, v58, v56
	v_pk_fma_f16 v66, v33, v62, v59
	;; [unrolled: 1-line block ×7, first 2 shown]
	ds_load_b128 v[56:59], v24 offset:336
	s_wait_dscnt 0x2
	v_and_b32_e32 v50, 0xffff, v35
	v_lshrrev_b32_e32 v35, 16, v35
	v_and_b32_e32 v62, 0xffff, v36
	v_lshrrev_b32_e32 v36, 16, v36
	v_pk_fma_f16 v61, v34, v64, v61
	v_mul_u32_u24_e32 v50, 0x10001, v50
	v_mul_u32_u24_e32 v35, 0x10001, v35
	;; [unrolled: 1-line block ×4, first 2 shown]
	v_pk_fma_f16 v63, v34, v65, v32
	s_wait_dscnt 0x1
	v_pk_fma_f16 v64, v39, v50, v66
	v_pk_fma_f16 v60, v39, v35, v60
	v_pk_fma_f16 v43, v39, v62, v43
	v_pk_fma_f16 v39, v39, v36, v31
	v_and_b32_e32 v31, 0xffff, v37
	v_lshrrev_b32_e32 v32, 16, v37
	v_pk_fma_f16 v50, v40, v50, v33
	v_pk_fma_f16 v35, v40, v35, v44
	;; [unrolled: 1-line block ×3, first 2 shown]
	v_and_b32_e32 v44, 0xffff, v38
	v_lshrrev_b32_e32 v38, 16, v38
	v_mul_u32_u24_e32 v61, 0x10001, v31
	v_mul_u32_u24_e32 v62, 0x10001, v32
	ds_load_2addr_b64 v[31:34], v49 offset0:64 offset1:96
	v_mul_u32_u24_e32 v44, 0x10001, v44
	v_mul_u32_u24_e32 v38, 0x10001, v38
	v_pk_fma_f16 v36, v40, v36, v63
	v_pk_fma_f16 v40, v41, v61, v64
	;; [unrolled: 1-line block ×7, first 2 shown]
	s_wait_dscnt 0x1
	v_and_b32_e32 v35, 0xffff, v56
	v_lshrrev_b32_e32 v56, 16, v56
	v_and_b32_e32 v61, 0xffff, v57
	v_lshrrev_b32_e32 v57, 16, v57
	v_pk_fma_f16 v44, v42, v44, v37
	v_mul_u32_u24_e32 v35, 0x10001, v35
	v_mul_u32_u24_e32 v56, 0x10001, v56
	v_mul_u32_u24_e32 v61, 0x10001, v61
	v_mul_u32_u24_e32 v57, 0x10001, v57
	v_pk_fma_f16 v62, v42, v38, v36
	s_wait_dscnt 0x0
	v_pk_fma_f16 v63, v31, v35, v40
	v_pk_fma_f16 v64, v32, v35, v41
	ds_load_b128 v[35:38], v24 offset:352
	v_pk_fma_f16 v60, v31, v56, v60
	v_pk_fma_f16 v43, v31, v61, v43
	;; [unrolled: 1-line block ×3, first 2 shown]
	v_and_b32_e32 v39, 0xffff, v58
	v_lshrrev_b32_e32 v40, 16, v58
	v_and_b32_e32 v41, 0xffff, v59
	v_pk_fma_f16 v50, v32, v56, v50
	v_pk_fma_f16 v44, v32, v61, v44
	v_lshrrev_b32_e32 v56, 16, v59
	v_mul_u32_u24_e32 v58, 0x10001, v39
	v_mul_u32_u24_e32 v59, 0x10001, v40
	;; [unrolled: 1-line block ×3, first 2 shown]
	ds_load_2addr_b64 v[39:42], v49 offset0:128 offset1:160
	v_mul_u32_u24_e32 v65, 0x10001, v56
	v_pk_fma_f16 v32, v32, v57, v62
	v_pk_fma_f16 v62, v33, v58, v63
	;; [unrolled: 1-line block ×7, first 2 shown]
	ds_load_b128 v[56:59], v24 offset:368
	s_wait_dscnt 0x2
	v_and_b32_e32 v63, 0xffff, v35
	v_lshrrev_b32_e32 v35, 16, v35
	v_and_b32_e32 v64, 0xffff, v36
	v_lshrrev_b32_e32 v36, 16, v36
	v_pk_fma_f16 v44, v34, v61, v44
	v_mul_u32_u24_e32 v61, 0x10001, v63
	v_mul_u32_u24_e32 v35, 0x10001, v35
	;; [unrolled: 1-line block ×4, first 2 shown]
	v_pk_fma_f16 v64, v34, v65, v32
	s_wait_dscnt 0x1
	v_pk_fma_f16 v62, v39, v61, v62
	v_pk_fma_f16 v60, v39, v35, v60
	;; [unrolled: 1-line block ×4, first 2 shown]
	v_and_b32_e32 v31, 0xffff, v37
	v_lshrrev_b32_e32 v32, 16, v37
	v_pk_fma_f16 v61, v40, v61, v33
	v_pk_fma_f16 v35, v40, v35, v50
	;; [unrolled: 1-line block ×3, first 2 shown]
	v_and_b32_e32 v44, 0xffff, v38
	v_lshrrev_b32_e32 v38, 16, v38
	v_mul_u32_u24_e32 v50, 0x10001, v31
	v_mul_u32_u24_e32 v63, 0x10001, v32
	ds_load_2addr_b64 v[31:34], v49 offset0:192 offset1:224
	v_mul_u32_u24_e32 v44, 0x10001, v44
	v_mul_u32_u24_e32 v38, 0x10001, v38
	v_pk_fma_f16 v36, v40, v36, v64
	v_pk_fma_f16 v40, v41, v50, v62
	;; [unrolled: 1-line block ×7, first 2 shown]
	s_wait_dscnt 0x1
	v_and_b32_e32 v35, 0xffff, v56
	v_lshrrev_b32_e32 v56, 16, v56
	v_and_b32_e32 v60, 0xffff, v57
	v_lshrrev_b32_e32 v57, 16, v57
	v_pk_fma_f16 v44, v42, v44, v37
	v_mul_u32_u24_e32 v35, 0x10001, v35
	v_mul_u32_u24_e32 v56, 0x10001, v56
	;; [unrolled: 1-line block ×4, first 2 shown]
	v_pk_fma_f16 v61, v42, v38, v36
	s_wait_dscnt 0x0
	v_pk_fma_f16 v62, v31, v35, v40
	v_pk_fma_f16 v63, v32, v35, v41
	ds_load_b128 v[35:38], v24 offset:384
	v_pk_fma_f16 v49, v31, v56, v49
	v_pk_fma_f16 v43, v31, v60, v43
	;; [unrolled: 1-line block ×3, first 2 shown]
	v_and_b32_e32 v39, 0xffff, v58
	v_lshrrev_b32_e32 v40, 16, v58
	v_and_b32_e32 v41, 0xffff, v59
	v_pk_fma_f16 v50, v32, v56, v50
	v_pk_fma_f16 v44, v32, v60, v44
	v_lshrrev_b32_e32 v56, 16, v59
	v_mul_u32_u24_e32 v58, 0x10001, v39
	v_mul_u32_u24_e32 v59, 0x10001, v40
	;; [unrolled: 1-line block ×3, first 2 shown]
	ds_load_2addr_b64 v[39:42], v30 offset1:32
	v_mul_u32_u24_e32 v64, 0x10001, v56
	v_pk_fma_f16 v32, v32, v57, v61
	v_pk_fma_f16 v61, v33, v58, v62
	;; [unrolled: 1-line block ×7, first 2 shown]
	ds_load_b128 v[56:59], v24 offset:400
	s_wait_dscnt 0x2
	v_and_b32_e32 v62, 0xffff, v35
	v_lshrrev_b32_e32 v35, 16, v35
	v_and_b32_e32 v63, 0xffff, v36
	v_lshrrev_b32_e32 v36, 16, v36
	v_pk_fma_f16 v44, v34, v60, v44
	v_mul_u32_u24_e32 v60, 0x10001, v62
	v_mul_u32_u24_e32 v35, 0x10001, v35
	;; [unrolled: 1-line block ×4, first 2 shown]
	v_pk_fma_f16 v63, v34, v64, v32
	s_wait_dscnt 0x1
	v_pk_fma_f16 v61, v39, v60, v61
	v_pk_fma_f16 v49, v39, v35, v49
	;; [unrolled: 1-line block ×4, first 2 shown]
	v_and_b32_e32 v31, 0xffff, v37
	v_lshrrev_b32_e32 v32, 16, v37
	v_pk_fma_f16 v60, v40, v60, v33
	v_pk_fma_f16 v35, v40, v35, v50
	;; [unrolled: 1-line block ×3, first 2 shown]
	v_and_b32_e32 v44, 0xffff, v38
	v_lshrrev_b32_e32 v38, 16, v38
	v_mul_u32_u24_e32 v50, 0x10001, v31
	v_mul_u32_u24_e32 v62, 0x10001, v32
	ds_load_2addr_b64 v[31:34], v30 offset0:64 offset1:96
	v_mul_u32_u24_e32 v44, 0x10001, v44
	v_mul_u32_u24_e32 v38, 0x10001, v38
	v_pk_fma_f16 v36, v40, v36, v63
	v_pk_fma_f16 v40, v41, v50, v61
	;; [unrolled: 1-line block ×7, first 2 shown]
	s_wait_dscnt 0x1
	v_and_b32_e32 v35, 0xffff, v56
	v_lshrrev_b32_e32 v56, 16, v56
	v_and_b32_e32 v60, 0xffff, v57
	v_lshrrev_b32_e32 v57, 16, v57
	v_pk_fma_f16 v44, v42, v44, v37
	v_mul_u32_u24_e32 v35, 0x10001, v35
	v_mul_u32_u24_e32 v56, 0x10001, v56
	;; [unrolled: 1-line block ×4, first 2 shown]
	v_pk_fma_f16 v61, v42, v38, v36
	s_wait_dscnt 0x0
	v_pk_fma_f16 v62, v31, v35, v40
	v_pk_fma_f16 v63, v32, v35, v41
	ds_load_b128 v[35:38], v24 offset:416
	v_pk_fma_f16 v49, v31, v56, v49
	v_pk_fma_f16 v43, v31, v60, v43
	;; [unrolled: 1-line block ×3, first 2 shown]
	v_and_b32_e32 v39, 0xffff, v58
	v_lshrrev_b32_e32 v40, 16, v58
	v_and_b32_e32 v41, 0xffff, v59
	v_pk_fma_f16 v50, v32, v56, v50
	v_pk_fma_f16 v44, v32, v60, v44
	v_lshrrev_b32_e32 v56, 16, v59
	v_mul_u32_u24_e32 v58, 0x10001, v39
	v_mul_u32_u24_e32 v59, 0x10001, v40
	;; [unrolled: 1-line block ×3, first 2 shown]
	ds_load_2addr_b64 v[39:42], v30 offset0:128 offset1:160
	v_mul_u32_u24_e32 v64, 0x10001, v56
	v_pk_fma_f16 v32, v32, v57, v61
	v_pk_fma_f16 v61, v33, v58, v62
	;; [unrolled: 1-line block ×7, first 2 shown]
	ds_load_b128 v[56:59], v24 offset:432
	s_wait_dscnt 0x2
	v_and_b32_e32 v62, 0xffff, v35
	v_lshrrev_b32_e32 v35, 16, v35
	v_and_b32_e32 v63, 0xffff, v36
	v_lshrrev_b32_e32 v36, 16, v36
	v_pk_fma_f16 v44, v34, v60, v44
	v_mul_u32_u24_e32 v60, 0x10001, v62
	v_mul_u32_u24_e32 v35, 0x10001, v35
	;; [unrolled: 1-line block ×4, first 2 shown]
	v_pk_fma_f16 v34, v34, v64, v32
	s_wait_dscnt 0x1
	v_pk_fma_f16 v61, v39, v60, v61
	v_pk_fma_f16 v49, v39, v35, v49
	;; [unrolled: 1-line block ×4, first 2 shown]
	v_and_b32_e32 v31, 0xffff, v37
	v_lshrrev_b32_e32 v32, 16, v37
	v_pk_fma_f16 v60, v40, v60, v33
	v_pk_fma_f16 v35, v40, v35, v50
	;; [unrolled: 1-line block ×3, first 2 shown]
	v_mul_u32_u24_e32 v50, 0x10001, v31
	v_mul_u32_u24_e32 v62, 0x10001, v32
	ds_load_2addr_b64 v[30:33], v30 offset0:192 offset1:224
	v_and_b32_e32 v44, 0xffff, v38
	v_lshrrev_b32_e32 v38, 16, v38
	v_pk_fma_f16 v34, v40, v36, v34
	v_pk_fma_f16 v40, v41, v62, v49
	;; [unrolled: 1-line block ×3, first 2 shown]
	v_mul_u32_u24_e32 v44, 0x10001, v44
	v_mul_u32_u24_e32 v38, 0x10001, v38
	s_wait_dscnt 0x1
	v_and_b32_e32 v35, 0xffff, v56
	v_pk_fma_f16 v36, v41, v50, v61
	v_pk_fma_f16 v43, v41, v44, v43
	;; [unrolled: 1-line block ×4, first 2 shown]
	v_lshrrev_b32_e32 v50, 16, v56
	v_and_b32_e32 v56, 0xffff, v57
	v_lshrrev_b32_e32 v57, 16, v57
	v_mul_u32_u24_e32 v35, 0x10001, v35
	v_pk_fma_f16 v44, v42, v44, v37
	v_mul_u32_u24_e32 v50, 0x10001, v50
	v_mul_u32_u24_e32 v56, 0x10001, v56
	;; [unrolled: 1-line block ×3, first 2 shown]
	v_pk_fma_f16 v42, v42, v38, v34
	s_wait_dscnt 0x0
	v_pk_fma_f16 v60, v30, v35, v36
	v_pk_fma_f16 v62, v31, v35, v41
	ds_load_b128 v[34:37], v24 offset:448
	v_pk_fma_f16 v61, v30, v50, v40
	v_pk_fma_f16 v43, v30, v56, v43
	;; [unrolled: 1-line block ×3, first 2 shown]
	v_and_b32_e32 v38, 0xffff, v58
	v_lshrrev_b32_e32 v39, 16, v58
	v_and_b32_e32 v40, 0xffff, v59
	v_pk_fma_f16 v49, v31, v50, v49
	v_pk_fma_f16 v44, v31, v56, v44
	v_lshrrev_b32_e32 v50, 16, v59
	v_mul_u32_u24_e32 v56, 0x10001, v38
	v_mul_u32_u24_e32 v58, 0x10001, v39
	;; [unrolled: 1-line block ×3, first 2 shown]
	ds_load_2addr_b64 v[38:41], v29 offset1:32
	v_mul_u32_u24_e32 v50, 0x10001, v50
	v_pk_fma_f16 v31, v31, v57, v42
	v_pk_fma_f16 v42, v32, v56, v60
	;; [unrolled: 1-line block ×7, first 2 shown]
	ds_load_b128 v[56:59], v24 offset:464
	s_wait_dscnt 0x2
	v_and_b32_e32 v61, 0xffff, v34
	v_lshrrev_b32_e32 v34, 16, v34
	v_and_b32_e32 v62, 0xffff, v35
	v_lshrrev_b32_e32 v35, 16, v35
	v_pk_fma_f16 v44, v33, v63, v44
	v_mul_u32_u24_e32 v61, 0x10001, v61
	v_mul_u32_u24_e32 v34, 0x10001, v34
	;; [unrolled: 1-line block ×4, first 2 shown]
	v_pk_fma_f16 v50, v33, v50, v31
	s_wait_dscnt 0x1
	v_pk_fma_f16 v42, v38, v61, v42
	v_pk_fma_f16 v60, v38, v34, v60
	;; [unrolled: 1-line block ×4, first 2 shown]
	v_and_b32_e32 v30, 0xffff, v36
	v_lshrrev_b32_e32 v31, 16, v36
	v_pk_fma_f16 v61, v39, v61, v32
	v_pk_fma_f16 v34, v39, v34, v49
	;; [unrolled: 1-line block ×3, first 2 shown]
	v_and_b32_e32 v44, 0xffff, v37
	v_lshrrev_b32_e32 v37, 16, v37
	v_mul_u32_u24_e32 v49, 0x10001, v30
	v_mul_u32_u24_e32 v62, 0x10001, v31
	ds_load_2addr_b64 v[30:33], v29 offset0:64 offset1:96
	v_mul_u32_u24_e32 v44, 0x10001, v44
	v_mul_u32_u24_e32 v37, 0x10001, v37
	v_pk_fma_f16 v35, v39, v35, v50
	v_pk_fma_f16 v39, v40, v49, v42
	;; [unrolled: 1-line block ×7, first 2 shown]
	s_wait_dscnt 0x1
	v_and_b32_e32 v34, 0xffff, v56
	v_lshrrev_b32_e32 v50, 16, v56
	v_and_b32_e32 v56, 0xffff, v57
	v_lshrrev_b32_e32 v57, 16, v57
	v_pk_fma_f16 v44, v41, v44, v36
	v_mul_u32_u24_e32 v34, 0x10001, v34
	v_mul_u32_u24_e32 v50, 0x10001, v50
	;; [unrolled: 1-line block ×4, first 2 shown]
	v_pk_fma_f16 v60, v41, v37, v35
	s_wait_dscnt 0x0
	v_pk_fma_f16 v61, v30, v34, v39
	v_pk_fma_f16 v62, v31, v34, v40
	ds_load_b128 v[34:37], v24 offset:480
	v_pk_fma_f16 v42, v30, v50, v42
	v_pk_fma_f16 v43, v30, v56, v43
	;; [unrolled: 1-line block ×3, first 2 shown]
	v_and_b32_e32 v38, 0xffff, v58
	v_lshrrev_b32_e32 v39, 16, v58
	v_and_b32_e32 v40, 0xffff, v59
	v_pk_fma_f16 v49, v31, v50, v49
	v_pk_fma_f16 v44, v31, v56, v44
	v_lshrrev_b32_e32 v50, 16, v59
	v_mul_u32_u24_e32 v56, 0x10001, v38
	v_mul_u32_u24_e32 v58, 0x10001, v39
	;; [unrolled: 1-line block ×3, first 2 shown]
	ds_load_2addr_b64 v[38:41], v29 offset0:128 offset1:160
	v_mul_u32_u24_e32 v50, 0x10001, v50
	v_pk_fma_f16 v31, v31, v57, v60
	v_pk_fma_f16 v60, v32, v56, v61
	;; [unrolled: 1-line block ×7, first 2 shown]
	ds_load_b128 v[56:59], v24 offset:496
	s_wait_dscnt 0x2
	v_and_b32_e32 v61, 0xffff, v34
	v_lshrrev_b32_e32 v34, 16, v34
	v_and_b32_e32 v62, 0xffff, v35
	v_lshrrev_b32_e32 v35, 16, v35
	v_pk_fma_f16 v44, v33, v63, v44
	v_mul_u32_u24_e32 v61, 0x10001, v61
	v_mul_u32_u24_e32 v34, 0x10001, v34
	;; [unrolled: 1-line block ×4, first 2 shown]
	v_pk_fma_f16 v31, v33, v50, v31
	s_wait_dscnt 0x1
	v_pk_fma_f16 v33, v38, v61, v60
	v_pk_fma_f16 v42, v38, v34, v42
	;; [unrolled: 1-line block ×5, first 2 shown]
	v_and_b32_e32 v34, 0xffff, v36
	v_lshrrev_b32_e32 v35, 16, v36
	v_pk_fma_f16 v32, v39, v61, v32
	v_and_b32_e32 v49, 0xffff, v37
	v_lshrrev_b32_e32 v50, 16, v37
	v_mul_u32_u24_e32 v60, 0x10001, v34
	v_mul_u32_u24_e32 v61, 0x10001, v35
	ds_load_2addr_b64 v[34:37], v29 offset0:192 offset1:224
	v_mul_u32_u24_e32 v29, 0x10001, v49
	v_mul_u32_u24_e32 v49, 0x10001, v50
	s_wait_loadcnt_dscnt 0x0
	s_barrier_signal -1
	s_barrier_wait -1
	global_inv scope:SCOPE_SE
	s_load_b32 s5, s[20:21], 0x4
	v_pk_fma_f16 v44, v39, v62, v44
	v_pk_fma_f16 v31, v39, v63, v31
	;; [unrolled: 1-line block ×6, first 2 shown]
	v_and_b32_e32 v40, 0xffff, v56
	v_lshrrev_b32_e32 v43, 16, v56
	v_and_b32_e32 v50, 0xffff, v57
	v_lshrrev_b32_e32 v56, 16, v57
	v_pk_fma_f16 v32, v41, v60, v32
	v_pk_fma_f16 v38, v41, v61, v38
	v_pk_fma_f16 v29, v41, v29, v44
	v_mul_u32_u24_e32 v40, 0x10001, v40
	v_mul_u32_u24_e32 v43, 0x10001, v43
	;; [unrolled: 1-line block ×4, first 2 shown]
	v_pk_fma_f16 v31, v41, v49, v31
	v_pk_fma_f16 v33, v34, v40, v33
	;; [unrolled: 1-line block ×7, first 2 shown]
	v_and_b32_e32 v30, 0xffff, v58
	v_lshrrev_b32_e32 v32, 16, v58
	v_and_b32_e32 v34, 0xffff, v59
	v_lshrrev_b32_e32 v43, 16, v59
	v_pk_fma_f16 v29, v35, v44, v29
	v_mul_u32_u24_e32 v44, 0x10001, v30
	v_mul_u32_u24_e32 v49, 0x10001, v32
	;; [unrolled: 1-line block ×4, first 2 shown]
	v_pk_fma_f16 v50, v35, v50, v31
	s_wait_kmcnt 0x0
	s_lshl_b32 s5, s5, 6
	v_pk_fma_f16 v34, v36, v44, v33
	v_pk_fma_f16 v32, v36, v49, v39
	;; [unrolled: 1-line block ×8, first 2 shown]
	s_wait_alu 0xfffe
	s_add_co_i32 s4, s5, s4
	s_wait_alu 0xfffe
	s_cmp_ge_i32 s4, s30
	s_cbranch_scc1 .LBB19_51
; %bb.50:                               ;   in Loop: Header=BB19_17 Depth=1
	v_dual_mov_b32 v42, v0 :: v_dual_mov_b32 v43, v2
	v_dual_mov_b32 v44, v1 :: v_dual_mov_b32 v41, v3
	;; [unrolled: 1-line block ×4, first 2 shown]
	s_branch .LBB19_17
.LBB19_51:
	v_mov_b32_e32 v5, v19
.LBB19_52:
	v_cmp_lt_i32_e32 vcc_lo, v55, v20
	s_cmp_lg_u64 s[12:13], 0
	s_cselect_b32 s3, -1, 0
	s_cmp_eq_u32 s2, 0
	s_wait_alu 0xfffd
	v_cndmask_b32_e32 v4, v5, v55, vcc_lo
	v_cmp_lt_i32_e32 vcc_lo, v54, v20
	s_cselect_b32 s4, -1, 0
	s_wait_alu 0xfffe
	s_and_b32 s3, s4, s3
	s_wait_alu 0xfffd
	v_cndmask_b32_e32 v9, v5, v54, vcc_lo
	v_cmp_lt_i32_e32 vcc_lo, v53, v20
	s_delay_alu instid0(VALU_DEP_2)
	v_lshlrev_b32_e32 v9, 2, v9
	s_wait_alu 0xfffd
	v_dual_cndmask_b32 v15, v5, v53 :: v_dual_lshlrev_b32 v4, 2, v4
	v_cmp_lt_i32_e32 vcc_lo, v52, v20
	ds_bpermute_b32 v7, v4, v46
	v_lshlrev_b32_e32 v15, 2, v15
	s_wait_dscnt 0x0
	v_add_f32_e32 v7, v46, v7
	ds_bpermute_b32 v6, v4, v45
	ds_bpermute_b32 v8, v4, v47
	;; [unrolled: 1-line block ×4, first 2 shown]
	s_wait_dscnt 0x3
	v_add_f32_e32 v6, v45, v6
	s_wait_dscnt 0x2
	v_add_f32_e32 v8, v47, v8
	s_wait_dscnt 0x0
	v_dual_add_f32 v4, v48, v4 :: v_dual_add_f32 v7, v7, v11
	ds_bpermute_b32 v10, v9, v6
	ds_bpermute_b32 v14, v9, v8
	;; [unrolled: 1-line block ×3, first 2 shown]
	s_wait_dscnt 0x2
	v_add_f32_e32 v6, v6, v10
	s_wait_dscnt 0x1
	v_add_f32_e32 v8, v8, v14
	;; [unrolled: 2-line block ×3, first 2 shown]
	ds_bpermute_b32 v10, v15, v7
	ds_bpermute_b32 v9, v15, v6
	;; [unrolled: 1-line block ×4, first 2 shown]
	s_wait_alu 0xfffd
	v_cndmask_b32_e32 v15, v5, v52, vcc_lo
	v_cmp_lt_i32_e32 vcc_lo, v51, v20
	s_delay_alu instid0(VALU_DEP_2) | instskip(SKIP_4) | instid1(VALU_DEP_1)
	v_lshlrev_b32_e32 v15, 2, v15
	s_wait_alu 0xfffd
	v_cndmask_b32_e32 v5, v5, v51, vcc_lo
	s_wait_alu 0xfffe
	s_and_b32 vcc_lo, exec_lo, s3
	v_lshlrev_b32_e32 v5, 2, v5
	s_wait_dscnt 0x2
	v_dual_add_f32 v7, v7, v10 :: v_dual_add_f32 v6, v6, v9
	s_wait_dscnt 0x1
	v_add_f32_e32 v8, v8, v11
	s_wait_dscnt 0x0
	v_add_f32_e32 v4, v4, v14
	ds_bpermute_b32 v10, v15, v7
	ds_bpermute_b32 v9, v15, v6
	;; [unrolled: 1-line block ×4, first 2 shown]
	s_wait_dscnt 0x2
	v_dual_add_f32 v7, v7, v10 :: v_dual_add_f32 v6, v6, v9
	s_wait_dscnt 0x0
	v_add_f32_e32 v9, v4, v14
	ds_bpermute_b32 v10, v5, v7
	v_add_f32_e32 v8, v8, v11
	ds_bpermute_b32 v4, v5, v6
	ds_bpermute_b32 v11, v5, v8
	s_wait_dscnt 0x1
	v_add_f32_e32 v4, v6, v4
	ds_bpermute_b32 v14, v5, v9
	s_wait_dscnt 0x1
	v_dual_add_f32 v5, v7, v10 :: v_dual_add_f32 v6, v8, v11
	s_wait_dscnt 0x0
	v_add_f32_e32 v7, v9, v14
	s_wait_alu 0xfffe
	s_cbranch_vccz .LBB19_55
; %bb.53:
	v_dual_max_num_f32 v15, v1, v1 :: v_dual_add_nc_u32 v8, s33, v16
	v_dual_max_num_f32 v14, v0, v0 :: v_dual_max_num_f32 v21, v3, v3
	s_delay_alu instid0(VALU_DEP_2) | instskip(NEXT) | instid1(VALU_DEP_1)
	v_ashrrev_i32_e32 v9, 31, v8
	v_lshlrev_b64_e32 v[8:9], 2, v[8:9]
	s_delay_alu instid0(VALU_DEP_1) | instskip(SKIP_1) | instid1(VALU_DEP_2)
	v_add_co_u32 v8, vcc_lo, s12, v8
	s_wait_alu 0xfffd
	v_add_co_ci_u32_e64 v9, null, s13, v9, vcc_lo
	global_load_b128 v[8:11], v[8:9], off
	s_wait_loadcnt 0x0
	v_dual_max_num_f32 v20, v2, v2 :: v_dual_max_num_f32 v19, v9, v9
	v_dual_max_num_f32 v18, v8, v8 :: v_dual_max_num_f32 v23, v11, v11
	s_delay_alu instid0(VALU_DEP_2) | instskip(NEXT) | instid1(VALU_DEP_2)
	v_dual_max_num_f32 v22, v10, v10 :: v_dual_max_num_f32 v19, v15, v19
	v_dual_max_num_f32 v18, v14, v18 :: v_dual_max_num_f32 v21, v21, v23
	s_delay_alu instid0(VALU_DEP_2) | instskip(NEXT) | instid1(VALU_DEP_2)
	v_dual_max_num_f32 v20, v20, v22 :: v_dual_sub_f32 v15, v1, v19
	v_dual_sub_f32 v14, v0, v18 :: v_dual_sub_f32 v9, v9, v19
	s_delay_alu instid0(VALU_DEP_3) | instskip(NEXT) | instid1(VALU_DEP_3)
	v_dual_sub_f32 v8, v8, v18 :: v_dual_sub_f32 v23, v3, v21
	v_dual_sub_f32 v22, v2, v20 :: v_dual_sub_f32 v11, v11, v21
	v_dual_mov_b32 v0, v18 :: v_dual_mov_b32 v3, v21
	v_dual_sub_f32 v10, v10, v20 :: v_dual_mov_b32 v1, v19
	s_delay_alu instid0(VALU_DEP_4) | instskip(SKIP_1) | instid1(VALU_DEP_3)
	v_dual_mov_b32 v2, v20 :: v_dual_mul_f32 v19, 0x3fb8aa3b, v8
	v_dual_mul_f32 v18, 0x3fb8aa3b, v14 :: v_dual_mul_f32 v21, 0x3fb8aa3b, v9
	v_dual_mul_f32 v20, 0x3fb8aa3b, v15 :: v_dual_mul_f32 v25, 0x3fb8aa3b, v10
	s_delay_alu instid0(VALU_DEP_3) | instskip(NEXT) | instid1(VALU_DEP_3)
	v_fma_f32 v38, 0x3fb8aa3b, v8, -v19
	v_fma_f32 v28, 0x3fb8aa3b, v14, -v18
	v_rndne_f32_e32 v37, v18
	v_rndne_f32_e32 v39, v19
	;; [unrolled: 1-line block ×3, first 2 shown]
	v_fma_f32 v42, 0x3fb8aa3b, v9, -v21
	v_fmac_f32_e32 v28, 0x32a5705f, v14
	v_sub_f32_e32 v18, v18, v37
	v_fma_f32 v46, 0x3fb8aa3b, v10, -v25
	v_rndne_f32_e32 v47, v25
	v_dual_fmac_f32 v38, 0x32a5705f, v8 :: v_dual_sub_f32 v19, v19, v39
	s_delay_alu instid0(VALU_DEP_4)
	v_dual_sub_f32 v21, v21, v43 :: v_dual_add_f32 v18, v18, v28
	v_dual_mul_f32 v24, 0x3fb8aa3b, v22 :: v_dual_mul_f32 v27, 0x3fb8aa3b, v11
	v_fma_f32 v40, 0x3fb8aa3b, v15, -v20
	v_rndne_f32_e32 v41, v20
	v_dual_fmac_f32 v46, 0x32a5705f, v10 :: v_dual_sub_f32 v25, v25, v47
	v_dual_mul_f32 v26, 0x3fb8aa3b, v23 :: v_dual_add_f32 v19, v19, v38
	v_exp_f32_e32 v18, v18
	v_rndne_f32_e32 v51, v27
	v_cvt_i32_f32_e32 v37, v37
	v_sub_f32_e32 v20, v20, v41
	v_dual_fmac_f32 v42, 0x32a5705f, v9 :: v_dual_add_f32 v25, v25, v46
	v_fmac_f32_e32 v40, 0x32a5705f, v15
	v_exp_f32_e32 v19, v19
	v_fma_f32 v44, 0x3fb8aa3b, v22, -v24
	v_rndne_f32_e32 v45, v24
	v_fma_f32 v50, 0x3fb8aa3b, v11, -v27
	v_cvt_i32_f32_e32 v39, v39
	v_sub_f32_e32 v27, v27, v51
	v_dual_add_f32 v21, v21, v42 :: v_dual_add_f32 v20, v20, v40
	v_ldexp_f32 v18, v18, v37
	v_cmp_ngt_f32_e32 vcc_lo, 0xc2ce8ed0, v14
	v_fmac_f32_e32 v50, 0x32a5705f, v11
	v_sub_f32_e32 v24, v24, v45
	v_exp_f32_e32 v20, v20
	v_ldexp_f32 v19, v19, v39
	s_wait_alu 0xfffd
	v_cndmask_b32_e32 v18, 0, v18, vcc_lo
	v_cmp_ngt_f32_e32 vcc_lo, 0xc2ce8ed0, v8
	v_fmac_f32_e32 v44, 0x32a5705f, v22
	v_cvt_i32_f32_e32 v41, v41
	v_add_f32_e32 v27, v27, v50
	v_exp_f32_e32 v21, v21
	s_wait_alu 0xfffd
	v_dual_cndmask_b32 v19, 0, v19 :: v_dual_add_f32 v24, v24, v44
	v_cvt_i32_f32_e32 v43, v43
	v_ldexp_f32 v20, v20, v41
	v_cmp_ngt_f32_e32 vcc_lo, 0xc2ce8ed0, v15
	v_cvt_i32_f32_e32 v45, v45
	v_exp_f32_e32 v24, v24
	v_exp_f32_e32 v25, v25
	;; [unrolled: 1-line block ×3, first 2 shown]
	v_ldexp_f32 v21, v21, v43
	s_wait_alu 0xfffd
	v_cndmask_b32_e32 v20, 0, v20, vcc_lo
	v_cmp_ngt_f32_e32 vcc_lo, 0xc2ce8ed0, v9
	v_fma_f32 v48, 0x3fb8aa3b, v23, -v26
	v_rndne_f32_e32 v49, v26
	v_cvt_i32_f32_e32 v47, v47
	v_cvt_i32_f32_e32 v38, v51
	v_ldexp_f32 v24, v24, v45
	s_wait_alu 0xfffd
	v_cndmask_b32_e32 v21, 0, v21, vcc_lo
	v_cmp_ngt_f32_e32 vcc_lo, 0xc2ce8ed0, v22
	v_ldexp_f32 v25, v25, v47
	v_ldexp_f32 v27, v27, v38
	v_sub_f32_e32 v26, v26, v49
	v_cvt_i32_f32_e32 v28, v49
	s_wait_alu 0xfffd
	v_cndmask_b32_e32 v24, 0, v24, vcc_lo
	v_cmp_ngt_f32_e32 vcc_lo, 0xc2ce8ed0, v10
	s_wait_alu 0xfffd
	v_dual_fmac_f32 v48, 0x32a5705f, v23 :: v_dual_cndmask_b32 v25, 0, v25
	s_delay_alu instid0(VALU_DEP_1) | instskip(SKIP_1) | instid1(VALU_DEP_2)
	v_add_f32_e32 v26, v26, v48
	v_cmp_ngt_f32_e32 vcc_lo, 0xc2ce8ed0, v23
	v_exp_f32_e32 v26, v26
	s_delay_alu instid0(TRANS32_DEP_1) | instskip(SKIP_1) | instid1(VALU_DEP_1)
	v_ldexp_f32 v26, v26, v28
	s_wait_alu 0xfffd
	v_cndmask_b32_e32 v26, 0, v26, vcc_lo
	v_cmp_ngt_f32_e32 vcc_lo, 0xc2ce8ed0, v11
	s_wait_alu 0xfffd
	v_cndmask_b32_e32 v27, 0, v27, vcc_lo
	v_cmp_nlt_f32_e32 vcc_lo, 0x42b17218, v14
	s_wait_alu 0xfffd
	v_cndmask_b32_e32 v14, 0x7f800000, v18, vcc_lo
	v_cmp_nlt_f32_e32 vcc_lo, 0x42b17218, v8
	;; [unrolled: 3-line block ×3, first 2 shown]
	s_wait_alu 0xfffd
	s_delay_alu instid0(VALU_DEP_2)
	v_dual_fmac_f32 v8, v4, v14 :: v_dual_cndmask_b32 v15, 0x7f800000, v20
	v_cmp_nlt_f32_e32 vcc_lo, 0x42b17218, v9
	v_cvt_f16_f32_e32 v4, v14
	s_wait_alu 0xfffd
	v_cndmask_b32_e32 v9, 0x7f800000, v21, vcc_lo
	v_cmp_nlt_f32_e32 vcc_lo, 0x42b17218, v22
	s_wait_alu 0xfffd
	s_delay_alu instid0(VALU_DEP_2)
	v_dual_fmac_f32 v9, v5, v15 :: v_dual_cndmask_b32 v18, 0x7f800000, v24
	v_cmp_nlt_f32_e32 vcc_lo, 0x42b17218, v10
	v_cvt_f16_f32_e32 v5, v15
	s_wait_alu 0xfffd
	v_cndmask_b32_e32 v10, 0x7f800000, v25, vcc_lo
	v_cmp_nlt_f32_e32 vcc_lo, 0x42b17218, v23
	s_delay_alu instid0(VALU_DEP_3) | instskip(NEXT) | instid1(VALU_DEP_3)
	v_and_b32_e32 v15, 0xffff, v5
	v_dual_mov_b32 v5, v9 :: v_dual_fmac_f32 v10, v6, v18
	s_wait_alu 0xfffd
	v_cndmask_b32_e32 v19, 0x7f800000, v26, vcc_lo
	v_cmp_nlt_f32_e32 vcc_lo, 0x42b17218, v11
	v_cvt_f16_f32_e32 v6, v18
	v_mul_u32_u24_e32 v15, 0x10001, v15
	s_delay_alu instid0(VALU_DEP_4)
	v_cvt_f16_f32_e32 v14, v19
	s_wait_alu 0xfffd
	v_cndmask_b32_e32 v11, 0x7f800000, v27, vcc_lo
	v_and_b32_e32 v18, 0xffff, v6
	v_mov_b32_e32 v6, v10
	v_pk_mul_f16 v32, v32, v15
	s_delay_alu instid0(VALU_DEP_4) | instskip(SKIP_3) | instid1(VALU_DEP_4)
	v_dual_fmac_f32 v11, v7, v19 :: v_dual_and_b32 v14, 0xffff, v14
	v_and_b32_e32 v7, 0xffff, v4
	v_mul_u32_u24_e32 v18, 0x10001, v18
	v_mov_b32_e32 v4, v8
	v_mul_u32_u24_e32 v14, 0x10001, v14
	v_pk_mul_f16 v35, v35, v15
	v_mul_u32_u24_e32 v7, 0x10001, v7
	v_pk_mul_f16 v30, v30, v18
	v_pk_mul_f16 v33, v33, v18
	;; [unrolled: 1-line block ×6, first 2 shown]
	v_mov_b32_e32 v7, v11
	s_mov_b32 s3, exec_lo
	v_cmpx_gt_i32_e64 s22, v12
	s_cbranch_execnz .LBB19_56
.LBB19_54:
	s_nop 0
	s_sendmsg sendmsg(MSG_DEALLOC_VGPRS)
	s_endpgm
.LBB19_55:
	s_delay_alu instid0(VALU_DEP_1)
	v_dual_mov_b32 v11, v7 :: v_dual_mov_b32 v10, v6
	v_dual_mov_b32 v9, v5 :: v_dual_mov_b32 v8, v4
	s_mov_b32 s3, exec_lo
	v_cmpx_gt_i32_e64 s22, v12
	s_cbranch_execz .LBB19_54
.LBB19_56:
	s_load_b32 s1, s[0:1], 0xd4
	v_mov_b32_e32 v18, 1.0
	s_wait_kmcnt 0x0
	s_cmp_lg_u32 s1, 1
	s_cselect_b32 s4, -1, 0
	s_cmp_eq_u32 s1, 1
	s_cselect_b32 s3, -1, 0
	s_wait_alu 0xfffe
	s_and_b32 vcc_lo, exec_lo, s4
	s_wait_alu 0xfffe
	s_cbranch_vccnz .LBB19_58
; %bb.57:
	v_div_scale_f32 v14, null, v4, v4, 1.0
	s_delay_alu instid0(VALU_DEP_1) | instskip(NEXT) | instid1(TRANS32_DEP_1)
	v_rcp_f32_e32 v15, v14
	v_fma_f32 v18, -v14, v15, 1.0
	s_delay_alu instid0(VALU_DEP_1) | instskip(SKIP_1) | instid1(VALU_DEP_1)
	v_fmac_f32_e32 v15, v18, v15
	v_div_scale_f32 v18, vcc_lo, 1.0, v4, 1.0
	v_mul_f32_e32 v19, v18, v15
	s_delay_alu instid0(VALU_DEP_1) | instskip(NEXT) | instid1(VALU_DEP_1)
	v_fma_f32 v20, -v14, v19, v18
	v_fmac_f32_e32 v19, v20, v15
	s_delay_alu instid0(VALU_DEP_1) | instskip(SKIP_1) | instid1(VALU_DEP_1)
	v_fma_f32 v14, -v14, v19, v18
	s_wait_alu 0xfffd
	v_div_fmas_f32 v14, v14, v15, v19
	s_delay_alu instid0(VALU_DEP_1)
	v_div_fixup_f32 v18, v14, v4, 1.0
.LBB19_58:
	v_mad_co_u64_u32 v[14:15], null, s28, s22, v[12:13]
	v_cmp_eq_u32_e32 vcc_lo, 0, v13
	v_cvt_f32_f16_e32 v20, v36
	s_delay_alu instid0(VALU_DEP_1) | instskip(NEXT) | instid1(VALU_DEP_4)
	v_mul_f32_e32 v21, v18, v20
	v_mul_lo_u32 v4, v14, s23
	s_delay_alu instid0(VALU_DEP_1) | instskip(SKIP_1) | instid1(VALU_DEP_2)
	v_add3_u32 v4, s33, v16, v4
	v_cvt_f32_f16_e32 v16, v34
	v_mad_co_u64_u32 v[14:15], null, s1, v4, s[2:3]
	v_lshrrev_b32_e32 v4, 16, v34
	v_lshrrev_b32_e32 v15, 16, v36
	s_delay_alu instid0(VALU_DEP_4) | instskip(NEXT) | instid1(VALU_DEP_3)
	v_mul_f32_e32 v19, v18, v16
	v_cvt_f32_f16_e32 v4, v4
	v_mov_b32_e32 v13, 0
	v_lshl_add_u32 v12, v14, 7, v17
	v_cvt_f32_f16_e32 v15, v15
	s_delay_alu instid0(VALU_DEP_4) | instskip(NEXT) | instid1(VALU_DEP_3)
	v_mul_f32_e32 v20, v18, v4
	v_lshlrev_b64_e32 v[12:13], 2, v[12:13]
	s_delay_alu instid0(VALU_DEP_3) | instskip(NEXT) | instid1(VALU_DEP_2)
	v_mul_f32_e32 v22, v18, v15
	v_add_co_u32 v12, s0, s16, v12
	s_wait_alu 0xf1ff
	s_delay_alu instid0(VALU_DEP_3)
	v_add_co_ci_u32_e64 v13, null, s17, v13, s0
	s_and_b32 s0, vcc_lo, s4
	global_store_b128 v[12:13], v[19:22], off
	s_wait_alu 0xfffe
	s_and_saveexec_b32 s2, s0
	s_cbranch_execz .LBB19_60
; %bb.59:
	v_ashrrev_i32_e32 v15, 31, v14
	v_mov_b32_e32 v16, v8
	s_delay_alu instid0(VALU_DEP_2) | instskip(SKIP_1) | instid1(VALU_DEP_2)
	v_lshlrev_b64_e32 v[12:13], 3, v[14:15]
	v_mov_b32_e32 v15, v0
	v_add_co_u32 v12, vcc_lo, s18, v12
	s_wait_alu 0xfffd
	s_delay_alu instid0(VALU_DEP_3)
	v_add_co_ci_u32_e64 v13, null, s19, v13, vcc_lo
	global_store_b64 v[12:13], v[15:16], off
.LBB19_60:
	s_wait_alu 0xfffe
	s_or_b32 exec_lo, exec_lo, s2
	v_cndmask_b32_e64 v12, 0, 1, s3
	v_mov_b32_e32 v0, 1.0
	s_and_not1_b32 vcc_lo, exec_lo, s3
	s_wait_alu 0xfffe
	s_cbranch_vccnz .LBB19_62
; %bb.61:
	v_div_scale_f32 v0, null, v5, v5, 1.0
	s_delay_alu instid0(VALU_DEP_1) | instskip(NEXT) | instid1(TRANS32_DEP_1)
	v_rcp_f32_e32 v4, v0
	v_fma_f32 v8, -v0, v4, 1.0
	s_delay_alu instid0(VALU_DEP_1) | instskip(SKIP_1) | instid1(VALU_DEP_1)
	v_fmac_f32_e32 v4, v8, v4
	v_div_scale_f32 v8, vcc_lo, 1.0, v5, 1.0
	v_mul_f32_e32 v13, v8, v4
	s_delay_alu instid0(VALU_DEP_1) | instskip(NEXT) | instid1(VALU_DEP_1)
	v_fma_f32 v15, -v0, v13, v8
	v_fmac_f32_e32 v13, v15, v4
	s_delay_alu instid0(VALU_DEP_1) | instskip(SKIP_1) | instid1(VALU_DEP_1)
	v_fma_f32 v0, -v0, v13, v8
	s_wait_alu 0xfffd
	v_div_fmas_f32 v0, v0, v4, v13
	s_delay_alu instid0(VALU_DEP_1)
	v_div_fixup_f32 v0, v0, v5, 1.0
.LBB19_62:
	v_cvt_f32_f16_e32 v15, v32
	v_add_nc_u32_e32 v4, s1, v14
	v_cvt_f32_f16_e32 v16, v35
	v_mov_b32_e32 v14, 0
	v_lshrrev_b32_e32 v5, 16, v32
	v_lshrrev_b32_e32 v8, 16, v35
	v_lshl_add_u32 v13, v4, 7, v17
	s_delay_alu instid0(VALU_DEP_3) | instskip(NEXT) | instid1(VALU_DEP_3)
	v_cvt_f32_f16_e32 v5, v5
	v_cvt_f32_f16_e32 v8, v8
	s_delay_alu instid0(VALU_DEP_3)
	v_lshlrev_b64_e32 v[18:19], 2, v[13:14]
	v_mul_f32_e32 v13, v0, v15
	v_mul_f32_e32 v15, v0, v16
	;; [unrolled: 1-line block ×4, first 2 shown]
	v_add_co_u32 v18, vcc_lo, s16, v18
	s_wait_alu 0xfffd
	v_add_co_ci_u32_e64 v19, null, s17, v19, vcc_lo
	global_store_b128 v[18:19], v[13:16], off
	s_and_saveexec_b32 s2, s0
	s_cbranch_execz .LBB19_64
; %bb.63:
	v_ashrrev_i32_e32 v5, 31, v4
	v_mov_b32_e32 v8, v1
	s_delay_alu instid0(VALU_DEP_2) | instskip(NEXT) | instid1(VALU_DEP_1)
	v_lshlrev_b64_e32 v[13:14], 3, v[4:5]
	v_add_co_u32 v13, vcc_lo, s18, v13
	s_wait_alu 0xfffd
	s_delay_alu instid0(VALU_DEP_2)
	v_add_co_ci_u32_e64 v14, null, s19, v14, vcc_lo
	global_store_b64 v[13:14], v[8:9], off
.LBB19_64:
	s_wait_alu 0xfffe
	s_or_b32 exec_lo, exec_lo, s2
	v_cmp_ne_u32_e32 vcc_lo, 1, v12
	v_mov_b32_e32 v1, 1.0
	s_cbranch_vccnz .LBB19_66
; %bb.65:
	v_div_scale_f32 v0, null, v6, v6, 1.0
	s_delay_alu instid0(VALU_DEP_1) | instskip(NEXT) | instid1(TRANS32_DEP_1)
	v_rcp_f32_e32 v1, v0
	v_fma_f32 v5, -v0, v1, 1.0
	s_delay_alu instid0(VALU_DEP_1) | instskip(SKIP_1) | instid1(VALU_DEP_1)
	v_fmac_f32_e32 v1, v5, v1
	v_div_scale_f32 v5, vcc_lo, 1.0, v6, 1.0
	v_mul_f32_e32 v8, v5, v1
	s_delay_alu instid0(VALU_DEP_1) | instskip(NEXT) | instid1(VALU_DEP_1)
	v_fma_f32 v9, -v0, v8, v5
	v_fmac_f32_e32 v8, v9, v1
	s_delay_alu instid0(VALU_DEP_1) | instskip(SKIP_1) | instid1(VALU_DEP_1)
	v_fma_f32 v0, -v0, v8, v5
	s_wait_alu 0xfffd
	v_div_fmas_f32 v0, v0, v1, v8
	s_delay_alu instid0(VALU_DEP_1)
	v_div_fixup_f32 v1, v0, v6, 1.0
.LBB19_66:
	v_dual_mov_b32 v5, 0 :: v_dual_add_nc_u32 v0, s1, v4
	v_lshrrev_b32_e32 v6, 16, v30
	v_lshrrev_b32_e32 v8, 16, v33
	v_cvt_f32_f16_e32 v9, v30
	s_delay_alu instid0(VALU_DEP_4)
	v_lshl_add_u32 v4, v0, 7, v17
	v_cvt_f32_f16_e32 v14, v33
	v_cvt_f32_f16_e32 v6, v6
	;; [unrolled: 1-line block ×3, first 2 shown]
	v_mul_f32_e32 v13, v1, v9
	v_lshlrev_b64_e32 v[4:5], 2, v[4:5]
	v_mul_f32_e32 v15, v1, v14
	v_mul_f32_e32 v14, v1, v6
	;; [unrolled: 1-line block ×3, first 2 shown]
	s_delay_alu instid0(VALU_DEP_4)
	v_add_co_u32 v4, vcc_lo, s16, v4
	s_wait_alu 0xfffd
	v_add_co_ci_u32_e64 v5, null, s17, v5, vcc_lo
	global_store_b128 v[4:5], v[13:16], off
	s_and_saveexec_b32 s2, s0
	s_cbranch_execz .LBB19_68
; %bb.67:
	v_ashrrev_i32_e32 v1, 31, v0
	v_mov_b32_e32 v9, v2
	s_delay_alu instid0(VALU_DEP_2) | instskip(NEXT) | instid1(VALU_DEP_1)
	v_lshlrev_b64_e32 v[4:5], 3, v[0:1]
	v_add_co_u32 v4, vcc_lo, s18, v4
	s_wait_alu 0xfffd
	s_delay_alu instid0(VALU_DEP_2)
	v_add_co_ci_u32_e64 v5, null, s19, v5, vcc_lo
	global_store_b64 v[4:5], v[9:10], off
.LBB19_68:
	s_wait_alu 0xfffe
	s_or_b32 exec_lo, exec_lo, s2
	v_cmp_ne_u32_e32 vcc_lo, 1, v12
	v_mov_b32_e32 v1, 1.0
	s_cbranch_vccnz .LBB19_70
; %bb.69:
	v_div_scale_f32 v1, null, v7, v7, 1.0
	s_delay_alu instid0(VALU_DEP_1) | instskip(NEXT) | instid1(TRANS32_DEP_1)
	v_rcp_f32_e32 v2, v1
	v_fma_f32 v4, -v1, v2, 1.0
	s_delay_alu instid0(VALU_DEP_1) | instskip(SKIP_1) | instid1(VALU_DEP_1)
	v_fmac_f32_e32 v2, v4, v2
	v_div_scale_f32 v4, vcc_lo, 1.0, v7, 1.0
	v_mul_f32_e32 v5, v4, v2
	s_delay_alu instid0(VALU_DEP_1) | instskip(NEXT) | instid1(VALU_DEP_1)
	v_fma_f32 v6, -v1, v5, v4
	v_fmac_f32_e32 v5, v6, v2
	s_delay_alu instid0(VALU_DEP_1) | instskip(SKIP_1) | instid1(VALU_DEP_1)
	v_fma_f32 v1, -v1, v5, v4
	s_wait_alu 0xfffd
	v_div_fmas_f32 v1, v1, v2, v5
	s_delay_alu instid0(VALU_DEP_1)
	v_div_fixup_f32 v1, v1, v7, 1.0
.LBB19_70:
	v_dual_mov_b32 v5, 0 :: v_dual_add_nc_u32 v0, s1, v0
	v_lshrrev_b32_e32 v2, 16, v31
	v_lshrrev_b32_e32 v6, 16, v29
	v_cvt_f32_f16_e32 v7, v31
	s_delay_alu instid0(VALU_DEP_4) | instskip(SKIP_3) | instid1(VALU_DEP_4)
	v_lshl_add_u32 v4, v0, 7, v17
	v_cvt_f32_f16_e32 v10, v29
	v_cvt_f32_f16_e32 v2, v2
	;; [unrolled: 1-line block ×3, first 2 shown]
	v_lshlrev_b64_e32 v[8:9], 2, v[4:5]
	v_mul_f32_e32 v4, v1, v7
	v_mul_f32_e32 v6, v1, v10
	;; [unrolled: 1-line block ×4, first 2 shown]
	v_add_co_u32 v1, vcc_lo, s16, v8
	s_wait_alu 0xfffd
	v_add_co_ci_u32_e64 v2, null, s17, v9, vcc_lo
	global_store_b128 v[1:2], v[4:7], off
	s_and_b32 exec_lo, exec_lo, s0
	s_cbranch_execz .LBB19_54
; %bb.71:
	v_ashrrev_i32_e32 v1, 31, v0
	v_mov_b32_e32 v10, v3
	s_delay_alu instid0(VALU_DEP_2) | instskip(NEXT) | instid1(VALU_DEP_1)
	v_lshlrev_b64_e32 v[0:1], 3, v[0:1]
	v_add_co_u32 v0, vcc_lo, s18, v0
	s_wait_alu 0xfffd
	s_delay_alu instid0(VALU_DEP_2)
	v_add_co_ci_u32_e64 v1, null, s19, v1, vcc_lo
	global_store_b64 v[0:1], v[10:11], off
	s_nop 0
	s_sendmsg sendmsg(MSG_DEALLOC_VGPRS)
	s_endpgm
	.section	.rodata,"a",@progbits
	.p2align	6, 0x0
	.amdhsa_kernel _ZL15flash_attn_tileILi192ELi128ELi2ELi16ELb1EEvPKcS1_S1_S1_S1_PKiPfP15HIP_vector_typeIfLj2EEffffjfiS5_IjLj3EEiiiiiiiiiiiliiliiiiil
		.amdhsa_group_segment_fixed_size 25600
		.amdhsa_private_segment_fixed_size 0
		.amdhsa_kernarg_size 464
		.amdhsa_user_sgpr_count 2
		.amdhsa_user_sgpr_dispatch_ptr 0
		.amdhsa_user_sgpr_queue_ptr 0
		.amdhsa_user_sgpr_kernarg_segment_ptr 1
		.amdhsa_user_sgpr_dispatch_id 0
		.amdhsa_user_sgpr_private_segment_size 0
		.amdhsa_wavefront_size32 1
		.amdhsa_uses_dynamic_stack 0
		.amdhsa_enable_private_segment 0
		.amdhsa_system_sgpr_workgroup_id_x 1
		.amdhsa_system_sgpr_workgroup_id_y 1
		.amdhsa_system_sgpr_workgroup_id_z 1
		.amdhsa_system_sgpr_workgroup_info 0
		.amdhsa_system_vgpr_workitem_id 1
		.amdhsa_next_free_vgpr 147
		.amdhsa_next_free_sgpr 43
		.amdhsa_reserve_vcc 1
		.amdhsa_float_round_mode_32 0
		.amdhsa_float_round_mode_16_64 0
		.amdhsa_float_denorm_mode_32 3
		.amdhsa_float_denorm_mode_16_64 3
		.amdhsa_fp16_overflow 0
		.amdhsa_workgroup_processor_mode 1
		.amdhsa_memory_ordered 1
		.amdhsa_forward_progress 1
		.amdhsa_inst_pref_size 165
		.amdhsa_round_robin_scheduling 0
		.amdhsa_exception_fp_ieee_invalid_op 0
		.amdhsa_exception_fp_denorm_src 0
		.amdhsa_exception_fp_ieee_div_zero 0
		.amdhsa_exception_fp_ieee_overflow 0
		.amdhsa_exception_fp_ieee_underflow 0
		.amdhsa_exception_fp_ieee_inexact 0
		.amdhsa_exception_int_div_zero 0
	.end_amdhsa_kernel
	.section	.text._ZL15flash_attn_tileILi192ELi128ELi2ELi16ELb1EEvPKcS1_S1_S1_S1_PKiPfP15HIP_vector_typeIfLj2EEffffjfiS5_IjLj3EEiiiiiiiiiiiliiliiiiil,"axG",@progbits,_ZL15flash_attn_tileILi192ELi128ELi2ELi16ELb1EEvPKcS1_S1_S1_S1_PKiPfP15HIP_vector_typeIfLj2EEffffjfiS5_IjLj3EEiiiiiiiiiiiliiliiiiil,comdat
.Lfunc_end19:
	.size	_ZL15flash_attn_tileILi192ELi128ELi2ELi16ELb1EEvPKcS1_S1_S1_S1_PKiPfP15HIP_vector_typeIfLj2EEffffjfiS5_IjLj3EEiiiiiiiiiiiliiliiiiil, .Lfunc_end19-_ZL15flash_attn_tileILi192ELi128ELi2ELi16ELb1EEvPKcS1_S1_S1_S1_PKiPfP15HIP_vector_typeIfLj2EEffffjfiS5_IjLj3EEiiiiiiiiiiiliiliiiiil
                                        ; -- End function
	.set _ZL15flash_attn_tileILi192ELi128ELi2ELi16ELb1EEvPKcS1_S1_S1_S1_PKiPfP15HIP_vector_typeIfLj2EEffffjfiS5_IjLj3EEiiiiiiiiiiiliiliiiiil.num_vgpr, 147
	.set _ZL15flash_attn_tileILi192ELi128ELi2ELi16ELb1EEvPKcS1_S1_S1_S1_PKiPfP15HIP_vector_typeIfLj2EEffffjfiS5_IjLj3EEiiiiiiiiiiiliiliiiiil.num_agpr, 0
	.set _ZL15flash_attn_tileILi192ELi128ELi2ELi16ELb1EEvPKcS1_S1_S1_S1_PKiPfP15HIP_vector_typeIfLj2EEffffjfiS5_IjLj3EEiiiiiiiiiiiliiliiiiil.numbered_sgpr, 43
	.set _ZL15flash_attn_tileILi192ELi128ELi2ELi16ELb1EEvPKcS1_S1_S1_S1_PKiPfP15HIP_vector_typeIfLj2EEffffjfiS5_IjLj3EEiiiiiiiiiiiliiliiiiil.num_named_barrier, 0
	.set _ZL15flash_attn_tileILi192ELi128ELi2ELi16ELb1EEvPKcS1_S1_S1_S1_PKiPfP15HIP_vector_typeIfLj2EEffffjfiS5_IjLj3EEiiiiiiiiiiiliiliiiiil.private_seg_size, 0
	.set _ZL15flash_attn_tileILi192ELi128ELi2ELi16ELb1EEvPKcS1_S1_S1_S1_PKiPfP15HIP_vector_typeIfLj2EEffffjfiS5_IjLj3EEiiiiiiiiiiiliiliiiiil.uses_vcc, 1
	.set _ZL15flash_attn_tileILi192ELi128ELi2ELi16ELb1EEvPKcS1_S1_S1_S1_PKiPfP15HIP_vector_typeIfLj2EEffffjfiS5_IjLj3EEiiiiiiiiiiiliiliiiiil.uses_flat_scratch, 0
	.set _ZL15flash_attn_tileILi192ELi128ELi2ELi16ELb1EEvPKcS1_S1_S1_S1_PKiPfP15HIP_vector_typeIfLj2EEffffjfiS5_IjLj3EEiiiiiiiiiiiliiliiiiil.has_dyn_sized_stack, 0
	.set _ZL15flash_attn_tileILi192ELi128ELi2ELi16ELb1EEvPKcS1_S1_S1_S1_PKiPfP15HIP_vector_typeIfLj2EEffffjfiS5_IjLj3EEiiiiiiiiiiiliiliiiiil.has_recursion, 0
	.set _ZL15flash_attn_tileILi192ELi128ELi2ELi16ELb1EEvPKcS1_S1_S1_S1_PKiPfP15HIP_vector_typeIfLj2EEffffjfiS5_IjLj3EEiiiiiiiiiiiliiliiiiil.has_indirect_call, 0
	.section	.AMDGPU.csdata,"",@progbits
; Kernel info:
; codeLenInByte = 21064
; TotalNumSgprs: 45
; NumVgprs: 147
; ScratchSize: 0
; MemoryBound: 0
; FloatMode: 240
; IeeeMode: 1
; LDSByteSize: 25600 bytes/workgroup (compile time only)
; SGPRBlocks: 0
; VGPRBlocks: 18
; NumSGPRsForWavesPerEU: 45
; NumVGPRsForWavesPerEU: 147
; Occupancy: 9
; WaveLimiterHint : 1
; COMPUTE_PGM_RSRC2:SCRATCH_EN: 0
; COMPUTE_PGM_RSRC2:USER_SGPR: 2
; COMPUTE_PGM_RSRC2:TRAP_HANDLER: 0
; COMPUTE_PGM_RSRC2:TGID_X_EN: 1
; COMPUTE_PGM_RSRC2:TGID_Y_EN: 1
; COMPUTE_PGM_RSRC2:TGID_Z_EN: 1
; COMPUTE_PGM_RSRC2:TIDIG_COMP_CNT: 1
	.section	.text._ZL15flash_attn_tileILi192ELi128ELi1ELi16ELb1EEvPKcS1_S1_S1_S1_PKiPfP15HIP_vector_typeIfLj2EEffffjfiS5_IjLj3EEiiiiiiiiiiiliiliiiiil,"axG",@progbits,_ZL15flash_attn_tileILi192ELi128ELi1ELi16ELb1EEvPKcS1_S1_S1_S1_PKiPfP15HIP_vector_typeIfLj2EEffffjfiS5_IjLj3EEiiiiiiiiiiiliiliiiiil,comdat
	.globl	_ZL15flash_attn_tileILi192ELi128ELi1ELi16ELb1EEvPKcS1_S1_S1_S1_PKiPfP15HIP_vector_typeIfLj2EEffffjfiS5_IjLj3EEiiiiiiiiiiiliiliiiiil ; -- Begin function _ZL15flash_attn_tileILi192ELi128ELi1ELi16ELb1EEvPKcS1_S1_S1_S1_PKiPfP15HIP_vector_typeIfLj2EEffffjfiS5_IjLj3EEiiiiiiiiiiiliiliiiiil
	.p2align	8
	.type	_ZL15flash_attn_tileILi192ELi128ELi1ELi16ELb1EEvPKcS1_S1_S1_S1_PKiPfP15HIP_vector_typeIfLj2EEffffjfiS5_IjLj3EEiiiiiiiiiiiliiliiiiil,@function
_ZL15flash_attn_tileILi192ELi128ELi1ELi16ELb1EEvPKcS1_S1_S1_S1_PKiPfP15HIP_vector_typeIfLj2EEffffjfiS5_IjLj3EEiiiiiiiiiiiliiliiiiil: ; @_ZL15flash_attn_tileILi192ELi128ELi1ELi16ELb1EEvPKcS1_S1_S1_S1_PKiPfP15HIP_vector_typeIfLj2EEffffjfiS5_IjLj3EEiiiiiiiiiiiliiliiiiil
; %bb.0:
	s_clause 0x1
	s_load_b128 s[20:23], s[0:1], 0x5c
	s_load_b64 s[30:31], s[0:1], 0x80
	s_lshr_b32 s5, ttmp7, 16
	s_mov_b32 s37, 0
	s_mov_b64 s[34:35], 0
	s_wait_kmcnt 0x0
	s_ashr_i32 s2, s23, 31
	s_delay_alu instid0(SALU_CYCLE_1) | instskip(NEXT) | instid1(SALU_CYCLE_1)
	s_lshr_b32 s2, s2, 28
	s_add_co_i32 s2, s23, s2
	s_delay_alu instid0(SALU_CYCLE_1) | instskip(NEXT) | instid1(SALU_CYCLE_1)
	s_ashr_i32 s2, s2, 4
	s_cvt_f32_u32 s3, s2
	s_sub_co_i32 s4, 0, s2
	s_delay_alu instid0(SALU_CYCLE_2) | instskip(NEXT) | instid1(TRANS32_DEP_1)
	v_rcp_iflag_f32_e32 v1, s3
	v_readfirstlane_b32 s3, v1
	s_mul_f32 s3, s3, 0x4f7ffffe
	s_wait_alu 0xfffe
	s_delay_alu instid0(SALU_CYCLE_2) | instskip(SKIP_1) | instid1(SALU_CYCLE_2)
	s_cvt_u32_f32 s3, s3
	s_wait_alu 0xfffe
	s_mul_i32 s4, s4, s3
	s_delay_alu instid0(SALU_CYCLE_1) | instskip(NEXT) | instid1(SALU_CYCLE_1)
	s_mul_hi_u32 s4, s3, s4
	s_add_co_i32 s3, s3, s4
	s_wait_alu 0xfffe
	s_mul_hi_u32 s3, s5, s3
	s_wait_alu 0xfffe
	s_mul_i32 s4, s3, s2
	s_add_co_i32 s6, s3, 1
	s_sub_co_i32 s4, s5, s4
	s_delay_alu instid0(SALU_CYCLE_1)
	s_sub_co_i32 s7, s4, s2
	s_cmp_ge_u32 s4, s2
	s_cselect_b32 s3, s6, s3
	s_cselect_b32 s4, s7, s4
	s_wait_alu 0xfffe
	s_add_co_i32 s6, s3, 1
	s_cmp_ge_u32 s4, s2
	s_cselect_b32 s28, s6, s3
	s_abs_i32 s2, s31
	s_abs_i32 s7, s23
	s_wait_alu 0xfffe
	s_cvt_f32_u32 s3, s2
	s_sub_co_i32 s4, 0, s2
	s_lshl_b32 s5, s5, 4
	s_mul_i32 s6, s28, s23
	s_wait_alu 0xfffe
	v_rcp_iflag_f32_e32 v1, s3
	s_sub_co_i32 s33, s5, s6
	s_delay_alu instid0(TRANS32_DEP_1) | instskip(SKIP_2) | instid1(SALU_CYCLE_2)
	v_readfirstlane_b32 s3, v1
	s_mul_f32 s3, s3, 0x4f7ffffe
	s_wait_alu 0xfffe
	s_cvt_u32_f32 s3, s3
	s_wait_alu 0xfffe
	s_delay_alu instid0(SALU_CYCLE_2) | instskip(NEXT) | instid1(SALU_CYCLE_1)
	s_mul_i32 s4, s4, s3
	s_mul_hi_u32 s4, s3, s4
	s_delay_alu instid0(SALU_CYCLE_1)
	s_add_co_i32 s3, s3, s4
	s_xor_b32 s4, s23, s31
	s_wait_alu 0xfffe
	s_mul_hi_u32 s3, s7, s3
	s_ashr_i32 s24, s4, 31
	s_wait_alu 0xfffe
	s_mul_i32 s5, s3, s2
	s_delay_alu instid0(SALU_CYCLE_1)
	s_sub_co_i32 s4, s7, s5
	s_add_co_i32 s5, s3, 1
	s_sub_co_i32 s6, s4, s2
	s_cmp_ge_u32 s4, s2
	s_cselect_b32 s3, s5, s3
	s_cselect_b32 s4, s6, s4
	s_wait_alu 0xfffe
	s_add_co_i32 s5, s3, 1
	s_cmp_ge_u32 s4, s2
	s_cselect_b32 s2, s5, s3
	s_load_b512 s[4:19], s[0:1], 0x0
	s_xor_b32 s2, s2, s24
	s_wait_alu 0xfffe
	s_sub_co_i32 s38, s2, s24
	s_load_b64 s[2:3], s[0:1], 0xb8
	s_abs_i32 s31, s38
	s_delay_alu instid0(SALU_CYCLE_1) | instskip(NEXT) | instid1(SALU_CYCLE_3)
	s_cvt_f32_u32 s24, s31
	v_rcp_iflag_f32_e32 v1, s24
	s_wait_kmcnt 0x0
	s_cmp_eq_u64 s[10:11], 0
	s_delay_alu instid0(TRANS32_DEP_1)
	v_readfirstlane_b32 s24, v1
	s_cbranch_scc1 .LBB20_2
; %bb.1:
	s_abs_i32 s2, s2
	s_wait_alu 0xfffe
	s_cvt_f32_u32 s25, s2
	s_sub_co_i32 s26, 0, s2
	s_wait_alu 0xfffe
	s_delay_alu instid0(SALU_CYCLE_1) | instskip(NEXT) | instid1(TRANS32_DEP_1)
	v_rcp_iflag_f32_e32 v1, s25
	v_readfirstlane_b32 s25, v1
	s_mul_f32 s25, s25, 0x4f7ffffe
	s_wait_alu 0xfffe
	s_delay_alu instid0(SALU_CYCLE_2) | instskip(SKIP_1) | instid1(SALU_CYCLE_2)
	s_cvt_u32_f32 s25, s25
	s_wait_alu 0xfffe
	s_mul_i32 s26, s26, s25
	s_delay_alu instid0(SALU_CYCLE_1)
	s_mul_hi_u32 s29, s25, s26
	s_load_b64 s[26:27], s[0:1], 0xc8
	s_add_co_i32 s25, s25, s29
	s_wait_alu 0xfffe
	s_mul_hi_u32 s25, s28, s25
	s_wait_alu 0xfffe
	s_mul_i32 s25, s25, s2
	s_wait_alu 0xfffe
	s_sub_co_i32 s25, s28, s25
	s_wait_alu 0xfffe
	s_sub_co_i32 s29, s25, s2
	s_cmp_ge_u32 s25, s2
	s_cselect_b32 s25, s29, s25
	s_wait_alu 0xfffe
	s_sub_co_i32 s29, s25, s2
	s_cmp_ge_u32 s25, s2
	s_cselect_b32 s34, s29, s25
	s_delay_alu instid0(SALU_CYCLE_1) | instskip(SKIP_2) | instid1(SALU_CYCLE_1)
	s_ashr_i32 s35, s34, 31
	s_wait_kmcnt 0x0
	s_mul_u64 s[26:27], s[26:27], s[34:35]
	s_add_nc_u64 s[34:35], s[10:11], s[26:27]
.LBB20_2:
	v_lshrrev_b32_e32 v1, 10, v0
	s_load_b96 s[40:42], s[0:1], 0x70
	v_bfe_u32 v4, v0, 10, 10
	v_and_b32_e32 v0, 0x3ff, v0
	s_delay_alu instid0(VALU_DEP_3) | instskip(NEXT) | instid1(VALU_DEP_1)
	v_bfe_u32 v1, v1, 3, 7
	v_add_nc_u32_e32 v1, ttmp9, v1
	s_delay_alu instid0(VALU_DEP_1) | instskip(SKIP_3) | instid1(VALU_DEP_1)
	v_mul_hi_u32 v2, s20, v1
	s_wait_kmcnt 0x0
	s_mul_i32 s20, s33, s41
	s_ashr_i32 s27, s41, 31
	v_add_nc_u32_e32 v2, v1, v2
	s_mov_b32 s26, s41
	s_ashr_i32 s41, s40, 31
	s_delay_alu instid0(SALU_CYCLE_1) | instskip(NEXT) | instid1(VALU_DEP_1)
	s_lshr_b64 s[10:11], s[40:41], 2
	v_lshrrev_b32_e32 v2, s21, v2
	s_lshr_b32 s2, s41, 2
	s_wait_alu 0xfffe
	s_ashr_i32 s21, s20, 31
	s_delay_alu instid0(VALU_DEP_1) | instskip(NEXT) | instid1(VALU_DEP_1)
	v_mul_lo_u32 v2, v2, s22
	v_sub_nc_u32_e32 v11, v1, v2
	s_delay_alu instid0(VALU_DEP_1)
	v_mad_co_u64_u32 v[2:3], null, s10, v11, 0
	s_lshr_b64 s[10:11], s[26:27], 2
	s_mul_i32 s26, s28, s42
	v_mad_co_u64_u32 v[9:10], null, s2, v11, v[3:4]
	v_lshlrev_b32_e32 v12, 1, v4
	s_lshr_b32 s2, s27, 2
	s_ashr_i32 s27, s26, 31
	s_delay_alu instid0(SALU_CYCLE_1) | instskip(SKIP_2) | instid1(VALU_DEP_2)
	s_add_nc_u64 s[4:5], s[4:5], s[26:27]
	s_wait_alu 0xfffe
	s_add_nc_u64 s[4:5], s[4:5], s[20:21]
	v_dual_mov_b32 v3, v9 :: v_dual_and_b32 v8, 14, v12
	s_delay_alu instid0(VALU_DEP_1) | instskip(NEXT) | instid1(VALU_DEP_2)
	v_lshlrev_b64_e32 v[2:3], 2, v[2:3]
	v_mad_co_u64_u32 v[5:6], null, s10, v8, 0
	s_delay_alu instid0(VALU_DEP_2) | instskip(NEXT) | instid1(VALU_DEP_1)
	v_add_co_u32 v9, vcc_lo, s4, v2
	v_add_co_ci_u32_e64 v10, null, s5, v3, vcc_lo
	s_delay_alu instid0(VALU_DEP_3) | instskip(SKIP_2) | instid1(VALU_DEP_1)
	v_mad_co_u64_u32 v[6:7], null, s2, v8, v[6:7]
	v_lshlrev_b32_e32 v7, 4, v0
	s_load_b32 s4, s[0:1], 0x40
	v_add_co_u32 v7, vcc_lo, v9, v7
	s_delay_alu instid0(VALU_DEP_3) | instskip(SKIP_2) | instid1(VALU_DEP_2)
	v_lshlrev_b64_e32 v[2:3], 2, v[5:6]
	s_wait_alu 0xfffd
	v_add_co_ci_u32_e64 v9, null, 0, v10, vcc_lo
	v_add_co_u32 v2, vcc_lo, v7, v2
	s_wait_alu 0xfffd
	s_delay_alu instid0(VALU_DEP_2)
	v_add_co_ci_u32_e64 v3, null, v9, v3, vcc_lo
	v_cmp_gt_u32_e32 vcc_lo, 16, v0
	global_load_b128 v[13:16], v[2:3], off
	s_wait_loadcnt 0x0
	s_wait_kmcnt 0x0
	v_fma_mixlo_f16 v5, s4, v14, 0
	v_fma_mixlo_f16 v6, s4, v13, 0
	;; [unrolled: 1-line block ×4, first 2 shown]
	s_delay_alu instid0(VALU_DEP_4) | instskip(NEXT) | instid1(VALU_DEP_4)
	v_lshlrev_b32_e32 v14, 16, v5
	v_and_b32_e32 v6, 0xffff, v6
	v_lshlrev_b32_e32 v5, 3, v0
	s_delay_alu instid0(VALU_DEP_4) | instskip(SKIP_1) | instid1(VALU_DEP_4)
	v_lshlrev_b32_e32 v13, 16, v13
	v_and_b32_e32 v10, 0xffff, v10
	v_or_b32_e32 v15, v14, v6
	v_mul_u32_u24_e32 v6, 0x300, v4
	v_mad_u32_u24 v16, 0x300, v4, v5
	s_delay_alu instid0(VALU_DEP_4) | instskip(NEXT) | instid1(VALU_DEP_4)
	v_or3_b32 v14, v13, v10, 0
	v_or3_b32 v13, 0, 0, v15
	ds_store_b64 v16, v[13:14]
	s_and_saveexec_b32 s2, vcc_lo
	s_cbranch_execz .LBB20_4
; %bb.3:
	global_load_b128 v[13:16], v[2:3], off offset:512
	s_wait_loadcnt 0x0
	v_fma_mixlo_f16 v2, s4, v14, 0
	v_fma_mixlo_f16 v3, s4, v13, 0
	;; [unrolled: 1-line block ×4, first 2 shown]
	s_delay_alu instid0(VALU_DEP_4) | instskip(NEXT) | instid1(VALU_DEP_4)
	v_lshlrev_b32_e32 v2, 16, v2
	v_and_b32_e32 v3, 0xffff, v3
	s_delay_alu instid0(VALU_DEP_4) | instskip(NEXT) | instid1(VALU_DEP_4)
	v_and_b32_e32 v10, 0xffff, v10
	v_lshlrev_b32_e32 v13, 16, v13
	s_delay_alu instid0(VALU_DEP_3) | instskip(NEXT) | instid1(VALU_DEP_2)
	v_or_b32_e32 v2, v2, v3
	v_or3_b32 v3, v13, v10, 0
	v_add_nc_u32_e32 v10, v5, v6
	s_delay_alu instid0(VALU_DEP_3)
	v_or3_b32 v2, 0, 0, v2
	ds_store_b64 v10, v[2:3] offset:256
.LBB20_4:
	s_wait_alu 0xfffe
	s_or_b32 exec_lo, exec_lo, s2
	v_or_b32_e32 v10, 1, v12
	s_delay_alu instid0(VALU_DEP_1) | instskip(NEXT) | instid1(VALU_DEP_1)
	v_and_b32_e32 v13, 15, v10
	v_mad_co_u64_u32 v[2:3], null, s10, v13, 0
	s_delay_alu instid0(VALU_DEP_1) | instskip(NEXT) | instid1(VALU_DEP_1)
	v_mad_co_u64_u32 v[13:14], null, s11, v13, v[3:4]
	v_mov_b32_e32 v3, v13
	s_delay_alu instid0(VALU_DEP_1) | instskip(NEXT) | instid1(VALU_DEP_1)
	v_lshlrev_b64_e32 v[2:3], 2, v[2:3]
	v_add_co_u32 v2, s2, v7, v2
	s_wait_alu 0xf1ff
	s_delay_alu instid0(VALU_DEP_2)
	v_add_co_ci_u32_e64 v3, null, v9, v3, s2
	global_load_b128 v[13:16], v[2:3], off
	s_wait_loadcnt 0x0
	v_fma_mixlo_f16 v7, s4, v14, 0
	v_fma_mixlo_f16 v9, s4, v13, 0
	;; [unrolled: 1-line block ×4, first 2 shown]
	s_delay_alu instid0(VALU_DEP_4) | instskip(NEXT) | instid1(VALU_DEP_4)
	v_lshlrev_b32_e32 v7, 16, v7
	v_and_b32_e32 v9, 0xffff, v9
	s_delay_alu instid0(VALU_DEP_4) | instskip(NEXT) | instid1(VALU_DEP_4)
	v_and_b32_e32 v13, 0xffff, v13
	v_lshlrev_b32_e32 v14, 16, v14
	s_delay_alu instid0(VALU_DEP_3) | instskip(SKIP_1) | instid1(VALU_DEP_3)
	v_or_b32_e32 v7, v7, v9
	v_mad_u32_u24 v9, 0x180, v10, v5
	v_or3_b32 v14, v14, v13, 0
	s_delay_alu instid0(VALU_DEP_3)
	v_or3_b32 v13, 0, 0, v7
	ds_store_b64 v9, v[13:14]
	s_and_saveexec_b32 s2, vcc_lo
	s_cbranch_execz .LBB20_6
; %bb.5:
	global_load_b128 v[13:16], v[2:3], off offset:512
	v_mul_u32_u24_e32 v10, 0x180, v10
	s_wait_loadcnt 0x0
	v_fma_mixlo_f16 v2, s4, v14, 0
	v_fma_mixlo_f16 v3, s4, v13, 0
	v_fma_mixlo_f16 v7, s4, v15, 0
	v_fma_mixlo_f16 v9, s4, v16, 0
	s_delay_alu instid0(VALU_DEP_4) | instskip(NEXT) | instid1(VALU_DEP_4)
	v_lshlrev_b32_e32 v2, 16, v2
	v_and_b32_e32 v3, 0xffff, v3
	s_delay_alu instid0(VALU_DEP_4) | instskip(NEXT) | instid1(VALU_DEP_4)
	v_and_b32_e32 v7, 0xffff, v7
	v_lshlrev_b32_e32 v9, 16, v9
	s_delay_alu instid0(VALU_DEP_3) | instskip(NEXT) | instid1(VALU_DEP_2)
	v_or_b32_e32 v2, v2, v3
	v_or3_b32 v3, v9, v7, 0
	v_add_nc_u32_e32 v7, v5, v10
	s_delay_alu instid0(VALU_DEP_3)
	v_or3_b32 v2, 0, 0, v2
	ds_store_b64 v7, v[2:3] offset:256
.LBB20_6:
	s_wait_alu 0xfffe
	s_or_b32 exec_lo, exec_lo, s2
	s_cmp_eq_u64 s[14:15], 0
	s_wait_dscnt 0x0
	s_barrier_signal -1
	s_barrier_wait -1
	global_inv scope:SCOPE_SE
	s_cbranch_scc1 .LBB20_8
; %bb.7:
	s_load_b32 s2, s[0:1], 0xd0
	s_mov_b32 s5, 0
	s_wait_kmcnt 0x0
	s_mul_i32 s2, s2, s28
	s_wait_alu 0xfffe
	s_add_co_i32 s4, s2, ttmp9
	s_wait_alu 0xfffe
	s_lshl_b64 s[4:5], s[4:5], 2
	s_wait_alu 0xfffe
	s_add_nc_u64 s[4:5], s[14:15], s[4:5]
	s_load_b32 s30, s[4:5], 0x0
.LBB20_8:
	s_and_b32 s2, ttmp7, 0xffff
	v_mbcnt_lo_u32_b32 v7, -1, 0
	s_wait_alu 0xfffe
	s_lshl_b32 s4, s2, 5
	s_wait_kmcnt 0x0
	s_wait_alu 0xfffe
	s_cmp_lt_i32 s4, s30
	s_cbranch_scc1 .LBB20_11
; %bb.9:
	v_mbcnt_lo_u32_b32 v2, -1, 0
	v_mov_b32_e32 v9, 32
	s_delay_alu instid0(VALU_DEP_2)
	v_xor_b32_e32 v32, 16, v2
	v_xor_b32_e32 v28, 8, v2
	;; [unrolled: 1-line block ×5, first 2 shown]
	v_lshlrev_b32_e32 v10, 2, v0
	s_mov_b32 s29, 0
	s_cbranch_execz .LBB20_12
; %bb.10:
	v_dual_mov_b32 v14, 0 :: v_dual_mov_b32 v27, 0
	v_dual_mov_b32 v4, 0xfeffffff :: v_dual_mov_b32 v3, 0xfeffffff
	;; [unrolled: 1-line block ×4, first 2 shown]
	s_branch .LBB20_24
.LBB20_11:
                                        ; implicit-def: $vgpr2
                                        ; implicit-def: $vgpr9
                                        ; implicit-def: $vgpr32
                                        ; implicit-def: $vgpr28
                                        ; implicit-def: $vgpr29
                                        ; implicit-def: $vgpr30
                                        ; implicit-def: $vgpr31
	v_lshlrev_b32_e32 v10, 2, v0
	s_mov_b32 s29, 0
.LBB20_12:
	s_mul_f32 s5, s24, 0x4f7ffffe
	s_clause 0x1
	s_load_b128 s[24:27], s[0:1], 0x98
	s_load_b64 s[14:15], s[0:1], 0x8c
	s_sub_co_i32 s10, 0, s31
	v_lshrrev_b32_e32 v2, 3, v0
	s_cvt_u32_f32 s5, s5
	s_abs_i32 s36, s33
	s_mov_b32 s11, s37
	s_ashr_i32 s21, s33, 31
	s_wait_alu 0xfffe
	s_mul_i32 s10, s10, s5
	v_lshl_add_u32 v9, v4, 2, v2
	s_wait_alu 0xfffe
	s_mul_hi_u32 s10, s5, s10
	v_lshrrev_b32_e32 v13, 4, v0
	s_wait_alu 0xfffe
	s_add_co_i32 s10, s5, s10
	s_ashr_i32 s5, s38, 31
	s_wait_alu 0xfffe
	s_mul_u64 s[10:11], s[36:37], s[10:11]
	s_xor_b32 s5, s21, s5
	s_wait_alu 0xfffe
	s_mul_i32 s21, s11, s31
	s_ashr_i32 s3, s3, 1
	s_wait_alu 0xfffe
	s_sub_co_i32 s21, s36, s21
	s_add_co_i32 s37, s11, 1
	s_wait_kmcnt 0x0
	s_ashr_i32 s10, s26, 2
	s_ashr_i32 s14, s14, 2
	s_wait_alu 0xfffe
	s_sub_co_i32 s26, s21, s31
	s_clause 0x1
	s_load_b32 s20, s[0:1], 0x54
	s_load_b64 s[40:41], s[0:1], 0xa8
	s_cmp_ge_u32 s21, s31
	v_mul_lo_u32 v2, s14, v9
	s_cselect_b32 s11, s37, s11
	v_dual_mov_b32 v25, 0xfeffffff :: v_dual_add_nc_u32 v12, v13, v12
	s_cselect_b32 s21, s26, s21
	s_wait_alu 0xfffe
	s_add_co_i32 s26, s11, 1
	s_cmp_ge_u32 s21, s31
	v_mul_lo_u32 v18, s10, v12
	s_cselect_b32 s11, s26, s11
	v_dual_mov_b32 v23, 0 :: v_dual_and_b32 v14, 28, v10
	v_ashrrev_i32_e32 v3, 31, v2
	s_wait_alu 0xfffe
	s_xor_b32 s11, s11, s5
	s_mul_u64 s[24:25], s[24:25], s[28:29]
	s_wait_alu 0xfffe
	s_sub_co_i32 s5, s11, s5
	s_add_nc_u64 s[6:7], s[6:7], s[24:25]
	s_wait_alu 0xfffe
	s_mul_i32 s24, s5, s15
	v_mul_u32_u24_e32 v9, 0x90, v9
	v_lshlrev_b32_e32 v14, 2, v14
	v_lshlrev_b64_e32 v[2:3], 2, v[2:3]
	s_wait_alu 0xfffe
	s_ashr_i32 s25, s24, 31
	v_ashrrev_i32_e32 v19, 31, v18
	s_wait_alu 0xfffe
	s_add_nc_u64 s[6:7], s[6:7], s[24:25]
	v_add3_u32 v13, v9, v14, 0x1800
	v_and_b32_e32 v9, 60, v10
	v_add_co_u32 v2, vcc_lo, s6, v2
	s_wait_kmcnt 0x0
	s_mul_u64 s[36:37], s[40:41], s[28:29]
	s_mul_i32 s26, s5, s27
	v_lshlrev_b64_e32 v[19:20], 2, v[18:19]
	s_wait_alu 0xfffd
	v_add_co_ci_u32_e64 v3, null, s7, v3, vcc_lo
	s_add_nc_u64 s[8:9], s[8:9], s[36:37]
	s_ashr_i32 s27, s26, 31
	v_dual_mov_b32 v22, 0 :: v_dual_lshlrev_b32 v9, 2, v9
	s_add_nc_u64 s[8:9], s[8:9], s[26:27]
	v_add_co_u32 v15, vcc_lo, v2, v14
	s_wait_alu 0xfffd
	v_add_co_ci_u32_e64 v16, null, 0, v3, vcc_lo
	v_lshl_add_u32 v18, v4, 7, 0x2a00
	v_add_co_u32 v4, vcc_lo, s8, v19
	v_mad_co_u64_u32 v[2:3], null, v11, s3, v[0:1]
	v_lshl_or_b32 v3, v12, 8, v9
	s_wait_alu 0xfffd
	v_add_co_ci_u32_e64 v11, null, s9, v20, vcc_lo
	s_movk_i32 s5, 0x1800
	v_add_co_u32 v20, vcc_lo, v4, v9
	s_wait_alu 0xfffe
	v_mad_u32_u24 v17, 0x90, v0, s5
	v_dual_mov_b32 v14, 0 :: v_dual_add_nc_u32 v19, 0x1800, v3
	s_wait_alu 0xfffd
	v_add_co_ci_u32_e64 v21, null, 0, v11, vcc_lo
	v_dual_mov_b32 v12, 0 :: v_dual_mov_b32 v9, 32
	v_dual_mov_b32 v11, 0 :: v_dual_mov_b32 v26, 0xfeffffff
	v_mov_b32_e32 v24, 0
	s_ashr_i32 s15, s14, 31
	s_ashr_i32 s11, s10, 31
	s_add_nc_u64 s[6:7], s[0:1], 0xd0
	s_mov_b32 s3, 0xbbbac73d
.LBB20_13:                              ; =>This Inner Loop Header: Depth=1
	s_ashr_i32 s5, s4, 31
	s_wait_alu 0xfffe
	s_mul_u64 s[8:9], s[4:5], s[14:15]
	s_wait_alu 0xfffe
	s_lshl_b64 s[8:9], s[8:9], 2
	s_wait_alu 0xfffe
	v_add_co_u32 v3, vcc_lo, v15, s8
	s_wait_alu 0xfffd
	v_add_co_ci_u32_e64 v4, null, s9, v16, vcc_lo
	global_load_b128 v[27:30], v[3:4], off
	s_wait_loadcnt 0x0
	ds_store_b128 v13, v[27:30]
	s_wait_dscnt 0x0
	s_barrier_signal -1
	s_barrier_wait -1
	global_inv scope:SCOPE_SE
	ds_load_b128 v[29:32], v17
	ds_load_b128 v[33:36], v6
	ds_load_b128 v[37:40], v6 offset:384
	v_dual_mov_b32 v28, 0 :: v_dual_mov_b32 v27, 0
	s_wait_dscnt 0x1
	;;#ASMSTART
	v_dot2_f32_f16 v28, v29, v33, v28
	;;#ASMEND
	;;#ASMSTART
	v_dot2_f32_f16 v28, v30, v34, v28
	;;#ASMEND
	;;#ASMSTART
	v_dot2_f32_f16 v28, v31, v35, v28
	;;#ASMEND
	;;#ASMSTART
	v_dot2_f32_f16 v28, v32, v36, v28
	;;#ASMEND
	s_wait_dscnt 0x0
	;;#ASMSTART
	v_dot2_f32_f16 v27, v29, v37, v27
	;;#ASMEND
	;;#ASMSTART
	v_dot2_f32_f16 v27, v30, v38, v27
	;;#ASMEND
	;;#ASMSTART
	v_dot2_f32_f16 v27, v31, v39, v27
	;;#ASMEND
	;;#ASMSTART
	v_dot2_f32_f16 v27, v32, v40, v27
	;;#ASMEND
	ds_load_b128 v[29:32], v17 offset:16
	ds_load_b128 v[33:36], v6 offset:16
	ds_load_b128 v[37:40], v6 offset:400
	s_wait_dscnt 0x1
	;;#ASMSTART
	v_dot2_f32_f16 v28, v29, v33, v28
	;;#ASMEND
	;;#ASMSTART
	v_dot2_f32_f16 v28, v30, v34, v28
	;;#ASMEND
	;;#ASMSTART
	v_dot2_f32_f16 v28, v31, v35, v28
	;;#ASMEND
	;;#ASMSTART
	v_dot2_f32_f16 v28, v32, v36, v28
	;;#ASMEND
	s_wait_dscnt 0x0
	;;#ASMSTART
	v_dot2_f32_f16 v27, v29, v37, v27
	;;#ASMEND
	;;#ASMSTART
	v_dot2_f32_f16 v27, v30, v38, v27
	;;#ASMEND
	;;#ASMSTART
	v_dot2_f32_f16 v27, v31, v39, v27
	;;#ASMEND
	;;#ASMSTART
	v_dot2_f32_f16 v27, v32, v40, v27
	;;#ASMEND
	ds_load_b128 v[29:32], v17 offset:32
	ds_load_b128 v[33:36], v6 offset:32
	ds_load_b128 v[37:40], v6 offset:416
	;; [unrolled: 29-line block ×7, first 2 shown]
	s_wait_dscnt 0x1
	;;#ASMSTART
	v_dot2_f32_f16 v28, v29, v33, v28
	;;#ASMEND
	;;#ASMSTART
	v_dot2_f32_f16 v28, v30, v34, v28
	;;#ASMEND
	;; [unrolled: 3-line block ×4, first 2 shown]
	s_wait_dscnt 0x0
	;;#ASMSTART
	v_dot2_f32_f16 v27, v29, v37, v27
	;;#ASMEND
	;;#ASMSTART
	v_dot2_f32_f16 v27, v30, v38, v27
	;;#ASMEND
	;; [unrolled: 3-line block ×4, first 2 shown]
	s_wait_loadcnt 0x0
	s_barrier_signal -1
	s_barrier_wait -1
	global_inv scope:SCOPE_SE
	global_load_b128 v[29:32], v[3:4], off offset:128
	s_wait_loadcnt 0x0
	ds_store_b128 v13, v[29:32]
	s_wait_dscnt 0x0
	s_barrier_signal -1
	s_barrier_wait -1
	global_inv scope:SCOPE_SE
	ds_load_b128 v[29:32], v17
	ds_load_b128 v[33:36], v6 offset:128
	ds_load_b128 v[37:40], v6 offset:512
	s_wait_dscnt 0x1
	;;#ASMSTART
	v_dot2_f32_f16 v28, v29, v33, v28
	;;#ASMEND
	;;#ASMSTART
	v_dot2_f32_f16 v28, v30, v34, v28
	;;#ASMEND
	;;#ASMSTART
	v_dot2_f32_f16 v28, v31, v35, v28
	;;#ASMEND
	;;#ASMSTART
	v_dot2_f32_f16 v28, v32, v36, v28
	;;#ASMEND
	s_wait_dscnt 0x0
	;;#ASMSTART
	v_dot2_f32_f16 v27, v29, v37, v27
	;;#ASMEND
	;;#ASMSTART
	v_dot2_f32_f16 v27, v30, v38, v27
	;;#ASMEND
	;;#ASMSTART
	v_dot2_f32_f16 v27, v31, v39, v27
	;;#ASMEND
	;;#ASMSTART
	v_dot2_f32_f16 v27, v32, v40, v27
	;;#ASMEND
	ds_load_b128 v[29:32], v17 offset:16
	ds_load_b128 v[33:36], v6 offset:144
	ds_load_b128 v[37:40], v6 offset:528
	s_wait_dscnt 0x1
	;;#ASMSTART
	v_dot2_f32_f16 v28, v29, v33, v28
	;;#ASMEND
	;;#ASMSTART
	v_dot2_f32_f16 v28, v30, v34, v28
	;;#ASMEND
	;;#ASMSTART
	v_dot2_f32_f16 v28, v31, v35, v28
	;;#ASMEND
	;;#ASMSTART
	v_dot2_f32_f16 v28, v32, v36, v28
	;;#ASMEND
	s_wait_dscnt 0x0
	;;#ASMSTART
	v_dot2_f32_f16 v27, v29, v37, v27
	;;#ASMEND
	;;#ASMSTART
	v_dot2_f32_f16 v27, v30, v38, v27
	;;#ASMEND
	;;#ASMSTART
	v_dot2_f32_f16 v27, v31, v39, v27
	;;#ASMEND
	;;#ASMSTART
	v_dot2_f32_f16 v27, v32, v40, v27
	;;#ASMEND
	ds_load_b128 v[29:32], v17 offset:32
	;; [unrolled: 29-line block ×7, first 2 shown]
	ds_load_b128 v[33:36], v6 offset:240
	ds_load_b128 v[37:40], v6 offset:624
	s_wait_dscnt 0x1
	;;#ASMSTART
	v_dot2_f32_f16 v28, v29, v33, v28
	;;#ASMEND
	;;#ASMSTART
	v_dot2_f32_f16 v28, v30, v34, v28
	;;#ASMEND
	;; [unrolled: 3-line block ×4, first 2 shown]
	s_wait_dscnt 0x0
	;;#ASMSTART
	v_dot2_f32_f16 v27, v29, v37, v27
	;;#ASMEND
	;;#ASMSTART
	v_dot2_f32_f16 v27, v30, v38, v27
	;;#ASMEND
	;; [unrolled: 3-line block ×4, first 2 shown]
	s_wait_loadcnt 0x0
	s_barrier_signal -1
	s_barrier_wait -1
	global_inv scope:SCOPE_SE
	global_load_b128 v[29:32], v[3:4], off offset:256
	v_add_nc_u32_e32 v3, s4, v2
	s_delay_alu instid0(VALU_DEP_1) | instskip(NEXT) | instid1(VALU_DEP_1)
	v_ashrrev_i32_e32 v4, 31, v3
	v_lshlrev_b64_e32 v[3:4], 1, v[3:4]
	s_delay_alu instid0(VALU_DEP_1) | instskip(SKIP_1) | instid1(VALU_DEP_2)
	v_add_co_u32 v3, vcc_lo, s34, v3
	s_wait_alu 0xfffd
	v_add_co_ci_u32_e64 v4, null, s35, v4, vcc_lo
	s_wait_loadcnt 0x0
	ds_store_b128 v13, v[29:32]
	s_wait_dscnt 0x0
	s_barrier_signal -1
	s_barrier_wait -1
	global_inv scope:SCOPE_SE
	ds_load_b128 v[29:32], v17
	ds_load_b128 v[33:36], v6 offset:256
	ds_load_b128 v[37:40], v6 offset:640
	s_wait_dscnt 0x1
	;;#ASMSTART
	v_dot2_f32_f16 v28, v29, v33, v28
	;;#ASMEND
	;;#ASMSTART
	v_dot2_f32_f16 v28, v30, v34, v28
	;;#ASMEND
	;;#ASMSTART
	v_dot2_f32_f16 v28, v31, v35, v28
	;;#ASMEND
	;;#ASMSTART
	v_dot2_f32_f16 v28, v32, v36, v28
	;;#ASMEND
	s_wait_dscnt 0x0
	;;#ASMSTART
	v_dot2_f32_f16 v27, v29, v37, v27
	;;#ASMEND
	;;#ASMSTART
	v_dot2_f32_f16 v27, v30, v38, v27
	;;#ASMEND
	;;#ASMSTART
	v_dot2_f32_f16 v27, v31, v39, v27
	;;#ASMEND
	;;#ASMSTART
	v_dot2_f32_f16 v27, v32, v40, v27
	;;#ASMEND
	ds_load_b128 v[29:32], v17 offset:16
	ds_load_b128 v[33:36], v6 offset:272
	ds_load_b128 v[37:40], v6 offset:656
	s_wait_dscnt 0x1
	;;#ASMSTART
	v_dot2_f32_f16 v28, v29, v33, v28
	;;#ASMEND
	;;#ASMSTART
	v_dot2_f32_f16 v28, v30, v34, v28
	;;#ASMEND
	;;#ASMSTART
	v_dot2_f32_f16 v28, v31, v35, v28
	;;#ASMEND
	;;#ASMSTART
	v_dot2_f32_f16 v28, v32, v36, v28
	;;#ASMEND
	s_wait_dscnt 0x0
	;;#ASMSTART
	v_dot2_f32_f16 v27, v29, v37, v27
	;;#ASMEND
	;;#ASMSTART
	v_dot2_f32_f16 v27, v30, v38, v27
	;;#ASMEND
	;;#ASMSTART
	v_dot2_f32_f16 v27, v31, v39, v27
	;;#ASMEND
	;;#ASMSTART
	v_dot2_f32_f16 v27, v32, v40, v27
	;;#ASMEND
	ds_load_b128 v[29:32], v17 offset:32
	;; [unrolled: 29-line block ×7, first 2 shown]
	ds_load_b128 v[33:36], v6 offset:368
	ds_load_b128 v[37:40], v6 offset:752
	s_wait_dscnt 0x1
	;;#ASMSTART
	v_dot2_f32_f16 v28, v29, v33, v28
	;;#ASMEND
	;;#ASMSTART
	v_dot2_f32_f16 v28, v30, v34, v28
	;;#ASMEND
	;; [unrolled: 3-line block ×4, first 2 shown]
	s_wait_dscnt 0x0
	;;#ASMSTART
	v_dot2_f32_f16 v27, v29, v37, v27
	;;#ASMEND
	;;#ASMSTART
	v_dot2_f32_f16 v27, v30, v38, v27
	;;#ASMEND
	;; [unrolled: 3-line block ×4, first 2 shown]
	global_load_u16 v3, v[3:4], off
	v_cmp_ngt_f32_e64 s8, 0x3f200000, |v28|
                                        ; implicit-def: $vgpr4
	s_and_saveexec_b32 s9, s8
	s_wait_alu 0xfffe
	s_xor_b32 s8, exec_lo, s9
	s_cbranch_execz .LBB20_15
; %bb.14:                               ;   in Loop: Header=BB20_13 Depth=1
	v_add_f32_e64 v4, |v28|, |v28|
	s_delay_alu instid0(VALU_DEP_1) | instskip(SKIP_1) | instid1(VALU_DEP_2)
	v_mul_f32_e32 v29, 0x3fb8aa3b, v4
	v_cmp_ngt_f32_e32 vcc_lo, 0xc2ce8ed0, v4
	v_rndne_f32_e32 v30, v29
	v_fma_f32 v31, 0x3fb8aa3b, v4, -v29
	s_delay_alu instid0(VALU_DEP_2) | instskip(NEXT) | instid1(VALU_DEP_2)
	v_sub_f32_e32 v29, v29, v30
	v_fmac_f32_e32 v31, 0x32a5705f, v4
	v_cvt_i32_f32_e32 v30, v30
	s_delay_alu instid0(VALU_DEP_2) | instskip(NEXT) | instid1(VALU_DEP_1)
	v_add_f32_e32 v29, v29, v31
	v_exp_f32_e32 v29, v29
	s_delay_alu instid0(TRANS32_DEP_1) | instskip(SKIP_1) | instid1(VALU_DEP_1)
	v_ldexp_f32 v29, v29, v30
	s_wait_alu 0xfffd
	v_cndmask_b32_e32 v29, 0, v29, vcc_lo
	v_cmp_nlt_f32_e32 vcc_lo, 0x42b17218, v4
	s_wait_alu 0xfffd
	s_delay_alu instid0(VALU_DEP_2) | instskip(NEXT) | instid1(VALU_DEP_1)
	v_cndmask_b32_e32 v4, 0x7f800000, v29, vcc_lo
	v_add_f32_e32 v4, 1.0, v4
	s_delay_alu instid0(VALU_DEP_1) | instskip(NEXT) | instid1(TRANS32_DEP_1)
	v_rcp_f32_e32 v4, v4
	v_fma_f32 v4, v4, -2.0, 1.0
.LBB20_15:                              ;   in Loop: Header=BB20_13 Depth=1
	s_wait_alu 0xfffe
	s_and_not1_saveexec_b32 s8, s8
	s_cbranch_execz .LBB20_17
; %bb.16:                               ;   in Loop: Header=BB20_13 Depth=1
	v_mul_f32_e32 v4, v28, v28
	s_delay_alu instid0(VALU_DEP_1) | instskip(NEXT) | instid1(VALU_DEP_1)
	v_fmaak_f32 v29, s3, v4, 0x3ca908c9
	v_fmaak_f32 v29, v4, v29, 0xbd5c1c4e
	s_delay_alu instid0(VALU_DEP_1) | instskip(NEXT) | instid1(VALU_DEP_1)
	v_fmaak_f32 v29, v4, v29, 0x3e088382
	v_fmaak_f32 v29, v4, v29, 0xbeaaaa99
	s_delay_alu instid0(VALU_DEP_1) | instskip(NEXT) | instid1(VALU_DEP_1)
	v_mul_f32_e64 v29, |v28|, v29
	v_fma_f32 v4, v4, v29, |v28|
.LBB20_17:                              ;   in Loop: Header=BB20_13 Depth=1
	s_wait_alu 0xfffe
	s_or_b32 exec_lo, exec_lo, s8
	s_delay_alu instid0(VALU_DEP_1)
	v_bfi_b32 v4, 0x7fffffff, v4, v28
	v_xor_b32_e32 v32, 16, v7
	v_cmp_ngt_f32_e64 s8, 0x3f200000, |v27|
	v_max_num_f32_e32 v29, v25, v25
	s_wait_loadcnt 0x0
	v_fma_mix_f32 v33, s20, v4, v3 op_sel_hi:[0,0,1]
	v_cmp_gt_i32_e32 vcc_lo, 32, v32
	s_delay_alu instid0(VALU_DEP_2) | instskip(SKIP_2) | instid1(VALU_DEP_2)
	v_add_f32_e32 v28, 0x40051340, v33
	s_wait_alu 0xfffd
	v_cndmask_b32_e32 v4, v7, v32, vcc_lo
	v_max_num_f32_e32 v29, v29, v28
	s_delay_alu instid0(VALU_DEP_2)
	v_lshlrev_b32_e32 v4, 2, v4
	v_xor_b32_e32 v28, 8, v7
	ds_bpermute_b32 v30, v4, v29
	v_cmp_gt_i32_e32 vcc_lo, 32, v28
	s_wait_dscnt 0x0
	s_wait_alu 0xfffd
	v_dual_max_num_f32 v30, v30, v30 :: v_dual_cndmask_b32 v31, v7, v28
	s_delay_alu instid0(VALU_DEP_1) | instskip(NEXT) | instid1(VALU_DEP_2)
	v_max_num_f32_e32 v30, v29, v30
	v_lshlrev_b32_e32 v34, 2, v31
	v_xor_b32_e32 v29, 4, v7
	ds_bpermute_b32 v31, v34, v30
	v_cmp_gt_i32_e32 vcc_lo, 32, v29
	s_wait_alu 0xfffd
	v_cndmask_b32_e32 v35, v7, v29, vcc_lo
	s_delay_alu instid0(VALU_DEP_1) | instskip(SKIP_2) | instid1(VALU_DEP_1)
	v_lshlrev_b32_e32 v35, 2, v35
	s_wait_dscnt 0x0
	v_max_num_f32_e32 v31, v31, v31
	v_max_num_f32_e32 v31, v30, v31
	v_xor_b32_e32 v30, 2, v7
	ds_bpermute_b32 v36, v35, v31
	v_cmp_gt_i32_e32 vcc_lo, 32, v30
	s_wait_dscnt 0x0
	s_wait_alu 0xfffd
	v_dual_cndmask_b32 v37, v7, v30 :: v_dual_max_num_f32 v38, v36, v36
	s_delay_alu instid0(VALU_DEP_1)
	v_dual_max_num_f32 v37, v31, v38 :: v_dual_lshlrev_b32 v36, 2, v37
	v_xor_b32_e32 v31, 1, v7
	ds_bpermute_b32 v38, v36, v37
	v_cmp_gt_i32_e32 vcc_lo, 32, v31
	s_wait_dscnt 0x0
	s_wait_alu 0xfffd
	v_dual_cndmask_b32 v39, v7, v31 :: v_dual_max_num_f32 v40, v38, v38
	s_delay_alu instid0(VALU_DEP_1)
	v_dual_max_num_f32 v37, v37, v40 :: v_dual_lshlrev_b32 v38, 2, v39
                                        ; implicit-def: $vgpr40
	ds_bpermute_b32 v39, v38, v37
	s_and_saveexec_b32 s9, s8
	s_wait_alu 0xfffe
	s_xor_b32 s8, exec_lo, s9
	s_cbranch_execz .LBB20_19
; %bb.18:                               ;   in Loop: Header=BB20_13 Depth=1
	v_add_f32_e64 v40, |v27|, |v27|
	s_delay_alu instid0(VALU_DEP_1) | instskip(SKIP_1) | instid1(VALU_DEP_2)
	v_mul_f32_e32 v41, 0x3fb8aa3b, v40
	v_cmp_ngt_f32_e32 vcc_lo, 0xc2ce8ed0, v40
	v_rndne_f32_e32 v42, v41
	v_fma_f32 v43, 0x3fb8aa3b, v40, -v41
	s_delay_alu instid0(VALU_DEP_2) | instskip(NEXT) | instid1(VALU_DEP_2)
	v_sub_f32_e32 v41, v41, v42
	v_fmac_f32_e32 v43, 0x32a5705f, v40
	v_cvt_i32_f32_e32 v42, v42
	s_delay_alu instid0(VALU_DEP_2) | instskip(NEXT) | instid1(VALU_DEP_1)
	v_add_f32_e32 v41, v41, v43
	v_exp_f32_e32 v41, v41
	s_delay_alu instid0(TRANS32_DEP_1) | instskip(SKIP_1) | instid1(VALU_DEP_1)
	v_ldexp_f32 v41, v41, v42
	s_wait_alu 0xfffd
	v_cndmask_b32_e32 v41, 0, v41, vcc_lo
	v_cmp_nlt_f32_e32 vcc_lo, 0x42b17218, v40
	s_wait_alu 0xfffd
	s_delay_alu instid0(VALU_DEP_2) | instskip(NEXT) | instid1(VALU_DEP_1)
	v_cndmask_b32_e32 v40, 0x7f800000, v41, vcc_lo
	v_add_f32_e32 v40, 1.0, v40
	s_delay_alu instid0(VALU_DEP_1) | instskip(NEXT) | instid1(TRANS32_DEP_1)
	v_rcp_f32_e32 v40, v40
	v_fma_f32 v40, v40, -2.0, 1.0
.LBB20_19:                              ;   in Loop: Header=BB20_13 Depth=1
	s_wait_alu 0xfffe
	s_and_not1_saveexec_b32 s8, s8
	s_cbranch_execz .LBB20_21
; %bb.20:                               ;   in Loop: Header=BB20_13 Depth=1
	v_mul_f32_e32 v40, v27, v27
	s_delay_alu instid0(VALU_DEP_1) | instskip(NEXT) | instid1(VALU_DEP_1)
	v_fmaak_f32 v41, s3, v40, 0x3ca908c9
	v_fmaak_f32 v41, v40, v41, 0xbd5c1c4e
	s_delay_alu instid0(VALU_DEP_1) | instskip(NEXT) | instid1(VALU_DEP_1)
	v_fmaak_f32 v41, v40, v41, 0x3e088382
	v_fmaak_f32 v41, v40, v41, 0xbeaaaa99
	s_delay_alu instid0(VALU_DEP_1) | instskip(NEXT) | instid1(VALU_DEP_1)
	v_mul_f32_e64 v41, |v27|, v41
	v_fma_f32 v40, v40, v41, |v27|
.LBB20_21:                              ;   in Loop: Header=BB20_13 Depth=1
	s_wait_alu 0xfffe
	s_or_b32 exec_lo, exec_lo, s8
	s_mul_u64 s[8:9], s[4:5], s[10:11]
	s_wait_dscnt 0x0
	s_wait_alu 0xfffe
	s_lshl_b64 s[8:9], s[8:9], 2
	s_barrier_signal -1
	s_wait_alu 0xfffe
	v_add_co_u32 v41, vcc_lo, v20, s8
	s_wait_alu 0xfffd
	v_add_co_ci_u32_e64 v42, null, s9, v21, vcc_lo
	s_barrier_wait -1
	global_inv scope:SCOPE_SE
	v_cvt_f32_f16_e32 v45, v3
	global_load_b128 v[41:44], v[41:42], off
	v_bfi_b32 v3, 0x7fffffff, v40, v27
	s_or_b32 s8, s4, 16
	v_add_nc_u32_e32 v86, 0x1800, v5
	s_wait_alu 0xfffe
	s_ashr_i32 s9, s8, 31
	v_fmac_f32_e32 v45, s20, v3
	v_max_num_f32_e32 v3, v26, v26
	s_wait_alu 0xfffe
	s_mul_u64 s[8:9], s[8:9], s[10:11]
	s_wait_alu 0xfffe
	s_lshl_b64 s[8:9], s[8:9], 2
	v_add_f32_e32 v27, 0x40051340, v45
	s_delay_alu instid0(VALU_DEP_1) | instskip(SKIP_3) | instid1(VALU_DEP_1)
	v_max_num_f32_e32 v3, v3, v27
	ds_bpermute_b32 v4, v4, v3
	s_wait_dscnt 0x0
	v_dual_max_num_f32 v4, v4, v4 :: v_dual_max_num_f32 v27, v39, v39
	v_max_num_f32_e32 v3, v3, v4
	ds_bpermute_b32 v4, v34, v3
	v_max_num_f32_e32 v34, v37, v37
	s_wait_dscnt 0x0
	v_max_num_f32_e32 v4, v4, v4
	s_delay_alu instid0(VALU_DEP_1) | instskip(SKIP_3) | instid1(VALU_DEP_1)
	v_max_num_f32_e32 v3, v3, v4
	ds_bpermute_b32 v4, v35, v3
	s_wait_dscnt 0x0
	v_max_num_f32_e32 v4, v4, v4
	v_max_num_f32_e32 v3, v3, v4
	ds_bpermute_b32 v4, v36, v3
	s_wait_dscnt 0x0
	v_max_num_f32_e32 v4, v4, v4
	s_delay_alu instid0(VALU_DEP_1) | instskip(SKIP_4) | instid1(VALU_DEP_2)
	v_max_num_f32_e32 v4, v3, v4
	ds_bpermute_b32 v3, v38, v4
	s_wait_dscnt 0x0
	v_max_num_f32_e32 v35, v3, v3
	v_max_num_f32_e32 v3, v34, v27
	;; [unrolled: 1-line block ×3, first 2 shown]
	s_delay_alu instid0(VALU_DEP_2) | instskip(SKIP_1) | instid1(VALU_DEP_2)
	v_sub_f32_e32 v27, v33, v3
	v_sub_f32_e32 v25, v25, v3
	v_dual_sub_f32 v34, v45, v4 :: v_dual_mul_f32 v33, 0x3fb8aa3b, v27
	v_sub_f32_e32 v26, v26, v4
	s_delay_alu instid0(VALU_DEP_2) | instskip(NEXT) | instid1(VALU_DEP_3)
	v_dual_mul_f32 v88, 0x3fb8aa3b, v25 :: v_dual_mul_f32 v35, 0x3fb8aa3b, v34
	v_fma_f32 v36, 0x3fb8aa3b, v27, -v33
	v_rndne_f32_e32 v37, v33
	s_delay_alu instid0(VALU_DEP_3) | instskip(SKIP_2) | instid1(VALU_DEP_4)
	v_fma_f32 v90, 0x3fb8aa3b, v25, -v88
	v_rndne_f32_e32 v91, v88
	v_fma_f32 v38, 0x3fb8aa3b, v34, -v35
	v_dual_fmac_f32 v36, 0x32a5705f, v27 :: v_dual_sub_f32 v33, v33, v37
	s_delay_alu instid0(VALU_DEP_4) | instskip(NEXT) | instid1(VALU_DEP_4)
	v_fmac_f32_e32 v90, 0x32a5705f, v25
	v_dual_sub_f32 v88, v88, v91 :: v_dual_add_nc_u32 v87, 0x2000, v5
	v_rndne_f32_e32 v39, v35
	s_delay_alu instid0(VALU_DEP_4) | instskip(NEXT) | instid1(VALU_DEP_3)
	v_dual_add_f32 v33, v33, v36 :: v_dual_fmac_f32 v38, 0x32a5705f, v34
	v_add_f32_e32 v88, v88, v90
	v_cvt_i32_f32_e32 v90, v91
	s_delay_alu instid0(VALU_DEP_4) | instskip(NEXT) | instid1(VALU_DEP_4)
	v_sub_f32_e32 v35, v35, v39
	v_exp_f32_e32 v33, v33
	v_cvt_i32_f32_e32 v36, v37
	v_exp_f32_e32 v88, v88
	v_cvt_i32_f32_e32 v37, v39
	v_mul_f32_e32 v89, 0x3fb8aa3b, v26
	s_delay_alu instid0(VALU_DEP_1) | instskip(NEXT) | instid1(TRANS32_DEP_2)
	v_fma_f32 v92, 0x3fb8aa3b, v26, -v89
	v_ldexp_f32 v33, v33, v36
	v_add_nc_u32_e32 v36, v18, v10
	s_delay_alu instid0(TRANS32_DEP_1) | instskip(SKIP_4) | instid1(VALU_DEP_4)
	v_ldexp_f32 v88, v88, v90
	v_add_f32_e32 v35, v35, v38
	v_cmp_ngt_f32_e32 vcc_lo, 0xc2ce8ed0, v27
	v_fmac_f32_e32 v92, 0x32a5705f, v26
	v_rndne_f32_e32 v93, v89
	v_exp_f32_e32 v35, v35
	s_wait_alu 0xfffd
	v_cndmask_b32_e32 v33, 0, v33, vcc_lo
	v_cmp_ngt_f32_e32 vcc_lo, 0xc2ce8ed0, v34
	v_cvt_i32_f32_e32 v91, v93
	s_delay_alu instid0(TRANS32_DEP_1) | instskip(SKIP_1) | instid1(VALU_DEP_1)
	v_ldexp_f32 v35, v35, v37
	s_wait_alu 0xfffd
	v_cndmask_b32_e32 v35, 0, v35, vcc_lo
	v_cmp_nlt_f32_e32 vcc_lo, 0x42b17218, v27
	s_wait_alu 0xfffd
	v_cndmask_b32_e32 v33, 0x7f800000, v33, vcc_lo
	v_cmp_nlt_f32_e32 vcc_lo, 0x42b17218, v34
	s_delay_alu instid0(VALU_DEP_2)
	v_cvt_f16_f32_e32 v34, v33
	s_wait_alu 0xfffd
	v_cndmask_b32_e32 v27, 0x7f800000, v35, vcc_lo
	s_wait_alu 0xfffe
	v_add_co_u32 v82, vcc_lo, v20, s8
	s_wait_alu 0xfffd
	v_add_co_ci_u32_e64 v83, null, s9, v21, vcc_lo
	v_cvt_f16_f32_e32 v35, v27
	v_cmp_ngt_f32_e32 vcc_lo, 0xc2ce8ed0, v25
	s_delay_alu instid0(VALU_DEP_2)
	v_pack_b32_f16 v34, v34, v35
	s_wait_alu 0xfffd
	v_cndmask_b32_e32 v88, 0, v88, vcc_lo
	v_cmp_ngt_f32_e32 vcc_lo, 0xc2ce8ed0, v26
	ds_store_b32 v36, v34
	s_wait_loadcnt 0x0
	ds_store_b128 v19, v[41:44]
	s_wait_dscnt 0x0
	s_barrier_signal -1
	s_barrier_wait -1
	global_inv scope:SCOPE_SE
	ds_load_2addr_b64 v[34:37], v86 offset1:32
	ds_load_b128 v[38:41], v18
	ds_load_b128 v[42:45], v18 offset:16
	ds_load_b128 v[46:49], v18 offset:32
	;; [unrolled: 1-line block ×3, first 2 shown]
	ds_load_2addr_b64 v[54:57], v86 offset0:64 offset1:96
	ds_load_2addr_b64 v[58:61], v86 offset0:128 offset1:160
	;; [unrolled: 1-line block ×3, first 2 shown]
	ds_load_2addr_b64 v[66:69], v87 offset1:32
	ds_load_2addr_b64 v[70:73], v87 offset0:64 offset1:96
	ds_load_2addr_b64 v[74:77], v87 offset0:128 offset1:160
	;; [unrolled: 1-line block ×3, first 2 shown]
	s_wait_loadcnt_dscnt 0x0
	s_barrier_signal -1
	s_barrier_wait -1
	global_inv scope:SCOPE_SE
	global_load_b128 v[82:85], v[82:83], off
	v_sub_f32_e32 v89, v89, v93
	s_delay_alu instid0(VALU_DEP_1)
	v_add_f32_e32 v89, v89, v92
	v_lshrrev_b32_e32 v90, 16, v42
	v_lshrrev_b32_e32 v92, 16, v44
	;; [unrolled: 1-line block ×3, first 2 shown]
	v_and_b32_e32 v45, 0xffff, v45
	v_exp_f32_e32 v89, v89
	v_mul_u32_u24_e32 v90, 0x10001, v90
	v_lshrrev_b32_e32 v94, 16, v46
	v_and_b32_e32 v46, 0xffff, v46
	v_and_b32_e32 v42, 0xffff, v42
	v_mul_u32_u24_e32 v92, 0x10001, v92
	v_mul_u32_u24_e32 v45, 0x10001, v45
	v_lshrrev_b32_e32 v95, 16, v47
	v_and_b32_e32 v47, 0xffff, v47
	v_mul_u32_u24_e32 v42, 0x10001, v42
	v_ldexp_f32 v89, v89, v91
	v_lshrrev_b32_e32 v91, 16, v43
	v_and_b32_e32 v43, 0xffff, v43
	v_mul_u32_u24_e32 v93, 0x10001, v93
	s_wait_alu 0xfffd
	v_dual_cndmask_b32 v89, 0, v89 :: v_dual_and_b32 v44, 0xffff, v44
	v_cmp_nlt_f32_e32 vcc_lo, 0x42b17218, v25
	v_mul_u32_u24_e32 v43, 0x10001, v43
	v_mul_u32_u24_e32 v91, 0x10001, v91
	s_delay_alu instid0(VALU_DEP_4)
	v_mul_u32_u24_e32 v44, 0x10001, v44
	v_mul_u32_u24_e32 v46, 0x10001, v46
	s_wait_alu 0xfffd
	v_cndmask_b32_e32 v25, 0x7f800000, v88, vcc_lo
	v_cmp_nlt_f32_e32 vcc_lo, 0x42b17218, v26
	v_lshrrev_b32_e32 v96, 16, v48
	v_and_b32_e32 v48, 0xffff, v48
	v_lshrrev_b32_e32 v97, 16, v49
	v_cvt_f16_f32_e32 v88, v25
	s_wait_alu 0xfffd
	v_cndmask_b32_e32 v26, 0x7f800000, v89, vcc_lo
	v_fmac_f32_e32 v33, v23, v25
	v_lshrrev_b32_e32 v23, 16, v38
	v_lshrrev_b32_e32 v25, 16, v39
	v_and_b32_e32 v88, 0xffff, v88
	v_cvt_f16_f32_e32 v89, v26
	v_fmac_f32_e32 v27, v24, v26
	v_and_b32_e32 v24, 0xffff, v38
	v_and_b32_e32 v26, 0xffff, v39
	v_mul_u32_u24_e32 v88, 0x10001, v88
	v_and_b32_e32 v89, 0xffff, v89
	v_mul_u32_u24_e32 v23, 0x10001, v23
	v_mul_u32_u24_e32 v24, 0x10001, v24
	v_and_b32_e32 v39, 0xffff, v40
	v_pk_mul_f16 v22, v22, v88
	v_mul_u32_u24_e32 v89, 0x10001, v89
	v_mul_u32_u24_e32 v26, 0x10001, v26
	v_pk_mul_f16 v102, v34, v24
	v_pk_mul_f16 v34, v34, v23
	v_pk_fma_f16 v22, v35, v24, v22
	v_pk_mul_f16 v12, v12, v89
	v_lshrrev_b32_e32 v38, 16, v40
	v_lshrrev_b32_e32 v40, 16, v41
	v_and_b32_e32 v41, 0xffff, v41
	v_mul_u32_u24_e32 v25, 0x10001, v25
	v_mul_u32_u24_e32 v39, 0x10001, v39
	v_pk_fma_f16 v12, v35, v23, v12
	v_pk_fma_f16 v14, v14, v88, v102
	;; [unrolled: 1-line block ×4, first 2 shown]
	v_mul_u32_u24_e32 v38, 0x10001, v38
	v_mul_u32_u24_e32 v41, 0x10001, v41
	v_pk_fma_f16 v12, v37, v25, v12
	v_pk_fma_f16 v14, v36, v26, v14
	v_pk_fma_f16 v11, v36, v25, v11
	v_pk_fma_f16 v22, v55, v39, v22
	v_mul_u32_u24_e32 v40, 0x10001, v40
	v_pk_fma_f16 v12, v55, v38, v12
	v_pk_fma_f16 v14, v54, v39, v14
	v_pk_fma_f16 v11, v54, v38, v11
	v_pk_fma_f16 v22, v57, v41, v22
	;; [unrolled: 5-line block ×4, first 2 shown]
	v_and_b32_e32 v49, 0xffff, v49
	v_pk_fma_f16 v12, v61, v91, v12
	v_pk_fma_f16 v14, v60, v43, v14
	;; [unrolled: 1-line block ×4, first 2 shown]
	v_mul_u32_u24_e32 v25, 0x10001, v95
	v_pk_fma_f16 v12, v63, v92, v12
	v_pk_fma_f16 v14, v62, v44, v14
	;; [unrolled: 1-line block ×4, first 2 shown]
	v_mul_u32_u24_e32 v26, 0x10001, v48
	v_pk_fma_f16 v12, v65, v93, v12
	v_pk_fma_f16 v14, v64, v45, v14
	;; [unrolled: 1-line block ×4, first 2 shown]
	v_lshrrev_b32_e32 v98, 16, v50
	v_pk_fma_f16 v12, v67, v24, v12
	v_pk_fma_f16 v14, v66, v46, v14
	;; [unrolled: 1-line block ×4, first 2 shown]
	v_and_b32_e32 v50, 0xffff, v50
	v_mul_u32_u24_e32 v34, 0x10001, v96
	v_mul_u32_u24_e32 v35, 0x10001, v49
	v_pk_fma_f16 v12, v69, v25, v12
	v_pk_fma_f16 v14, v68, v23, v14
	v_pk_fma_f16 v11, v68, v25, v11
	v_pk_fma_f16 v22, v71, v26, v22
	v_lshrrev_b32_e32 v99, 16, v51
	v_and_b32_e32 v51, 0xffff, v51
	v_mul_u32_u24_e32 v36, 0x10001, v97
	v_mul_u32_u24_e32 v37, 0x10001, v50
	v_pk_fma_f16 v12, v71, v34, v12
	v_pk_fma_f16 v14, v70, v26, v14
	v_pk_fma_f16 v11, v70, v34, v11
	v_pk_fma_f16 v22, v73, v35, v22
	v_lshrrev_b32_e32 v100, 16, v52
	v_and_b32_e32 v52, 0xffff, v52
	v_mul_u32_u24_e32 v38, 0x10001, v98
	v_mul_u32_u24_e32 v24, 0x10001, v51
	v_pk_fma_f16 v12, v73, v36, v12
	v_pk_fma_f16 v14, v72, v35, v14
	v_pk_fma_f16 v11, v72, v36, v11
	v_pk_fma_f16 v22, v75, v37, v22
	v_lshrrev_b32_e32 v101, 16, v53
	v_and_b32_e32 v53, 0xffff, v53
	v_mul_u32_u24_e32 v23, 0x10001, v99
	v_mul_u32_u24_e32 v25, 0x10001, v52
	v_pk_fma_f16 v12, v75, v38, v12
	v_pk_fma_f16 v14, v74, v37, v14
	;; [unrolled: 1-line block ×4, first 2 shown]
	v_mul_u32_u24_e32 v26, 0x10001, v100
	v_mul_u32_u24_e32 v34, 0x10001, v53
	v_pk_fma_f16 v12, v77, v23, v12
	v_pk_fma_f16 v14, v76, v24, v14
	;; [unrolled: 1-line block ×4, first 2 shown]
	v_mul_u32_u24_e32 v35, 0x10001, v101
	v_pk_fma_f16 v12, v79, v26, v12
	v_pk_fma_f16 v14, v78, v25, v14
	;; [unrolled: 1-line block ×4, first 2 shown]
	s_delay_alu instid0(VALU_DEP_4) | instskip(NEXT) | instid1(VALU_DEP_4)
	v_pk_fma_f16 v12, v81, v35, v12
	v_pk_fma_f16 v14, v80, v34, v14
	s_delay_alu instid0(VALU_DEP_4)
	v_pk_fma_f16 v11, v80, v35, v11
	s_wait_loadcnt 0x0
	ds_store_b128 v19, v[82:85]
	s_wait_dscnt 0x0
	s_barrier_signal -1
	s_barrier_wait -1
	global_inv scope:SCOPE_SE
	ds_load_b128 v[22:25], v18 offset:64
	ds_load_2addr_b64 v[34:37], v86 offset1:32
	ds_load_b128 v[38:41], v18 offset:80
	ds_load_b128 v[42:45], v18 offset:96
	;; [unrolled: 1-line block ×3, first 2 shown]
	ds_load_2addr_b64 v[50:53], v86 offset0:64 offset1:96
	ds_load_2addr_b64 v[54:57], v86 offset0:128 offset1:160
	;; [unrolled: 1-line block ×3, first 2 shown]
	ds_load_2addr_b64 v[62:65], v87 offset1:32
	ds_load_2addr_b64 v[66:69], v87 offset0:64 offset1:96
	ds_load_2addr_b64 v[70:73], v87 offset0:128 offset1:160
	;; [unrolled: 1-line block ×3, first 2 shown]
	s_wait_loadcnt_dscnt 0x0
	s_barrier_signal -1
	s_barrier_wait -1
	global_inv scope:SCOPE_SE
	s_load_b32 s5, s[6:7], 0x4
	v_lshrrev_b32_e32 v82, 16, v38
	v_and_b32_e32 v38, 0xffff, v38
	v_lshrrev_b32_e32 v83, 16, v39
	v_and_b32_e32 v39, 0xffff, v39
	v_lshrrev_b32_e32 v84, 16, v40
	v_mul_u32_u24_e32 v82, 0x10001, v82
	v_mul_u32_u24_e32 v38, 0x10001, v38
	v_and_b32_e32 v40, 0xffff, v40
	v_lshrrev_b32_e32 v78, 16, v22
	v_and_b32_e32 v22, 0xffff, v22
	v_lshrrev_b32_e32 v79, 16, v23
	;; [unrolled: 2-line block ×3, first 2 shown]
	v_mul_u32_u24_e32 v78, 0x10001, v78
	v_mul_u32_u24_e32 v22, 0x10001, v22
	v_and_b32_e32 v24, 0xffff, v24
	v_mul_u32_u24_e32 v23, 0x10001, v23
	v_mul_u32_u24_e32 v79, 0x10001, v79
	v_pk_fma_f16 v11, v34, v78, v11
	v_pk_fma_f16 v14, v34, v22, v14
	;; [unrolled: 1-line block ×4, first 2 shown]
	v_lshrrev_b32_e32 v81, 16, v25
	v_and_b32_e32 v25, 0xffff, v25
	v_mul_u32_u24_e32 v24, 0x10001, v24
	v_mul_u32_u24_e32 v80, 0x10001, v80
	v_pk_fma_f16 v14, v36, v23, v14
	v_pk_fma_f16 v11, v36, v79, v11
	;; [unrolled: 1-line block ×4, first 2 shown]
	v_mul_u32_u24_e32 v25, 0x10001, v25
	v_mul_u32_u24_e32 v81, 0x10001, v81
	v_pk_fma_f16 v14, v50, v24, v14
	v_pk_fma_f16 v11, v50, v80, v11
	v_pk_fma_f16 v22, v51, v24, v22
	v_pk_fma_f16 v12, v51, v80, v12
	v_mul_u32_u24_e32 v39, 0x10001, v39
	v_pk_fma_f16 v14, v52, v25, v14
	v_pk_fma_f16 v11, v52, v81, v11
	v_pk_fma_f16 v22, v53, v25, v22
	v_pk_fma_f16 v12, v53, v81, v12
	;; [unrolled: 5-line block ×3, first 2 shown]
	v_lshrrev_b32_e32 v85, 16, v41
	v_and_b32_e32 v41, 0xffff, v41
	v_mul_u32_u24_e32 v40, 0x10001, v40
	v_mul_u32_u24_e32 v84, 0x10001, v84
	v_pk_fma_f16 v14, v56, v39, v14
	v_pk_fma_f16 v11, v56, v83, v11
	v_pk_fma_f16 v22, v57, v39, v22
	v_pk_fma_f16 v12, v57, v83, v12
	v_lshrrev_b32_e32 v86, 16, v42
	v_and_b32_e32 v42, 0xffff, v42
	v_mul_u32_u24_e32 v41, 0x10001, v41
	v_mul_u32_u24_e32 v85, 0x10001, v85
	v_pk_fma_f16 v14, v58, v40, v14
	v_pk_fma_f16 v11, v58, v84, v11
	v_pk_fma_f16 v22, v59, v40, v22
	v_pk_fma_f16 v12, v59, v84, v12
	;; [unrolled: 8-line block ×9, first 2 shown]
	v_mul_u32_u24_e32 v26, 0x10001, v49
	v_mul_u32_u24_e32 v23, 0x10001, v93
	v_pk_fma_f16 v14, v74, v24, v14
	v_pk_fma_f16 v11, v74, v25, v11
	;; [unrolled: 1-line block ×4, first 2 shown]
	s_wait_kmcnt 0x0
	s_lshl_b32 s5, s5, 5
	v_pk_fma_f16 v14, v76, v26, v14
	v_pk_fma_f16 v11, v76, v23, v11
	;; [unrolled: 1-line block ×4, first 2 shown]
	s_wait_alu 0xfffe
	s_add_co_i32 s4, s5, s4
	s_wait_alu 0xfffe
	s_cmp_ge_i32 s4, s30
	s_cbranch_scc1 .LBB20_23
; %bb.22:                               ;   in Loop: Header=BB20_13 Depth=1
	v_dual_mov_b32 v25, v3 :: v_dual_mov_b32 v26, v4
	v_dual_mov_b32 v23, v33 :: v_dual_mov_b32 v24, v27
	s_branch .LBB20_13
.LBB20_23:
	v_mov_b32_e32 v2, v7
.LBB20_24:
	v_cmp_lt_i32_e32 vcc_lo, v32, v9
	s_cmp_lg_u64 s[12:13], 0
	s_cselect_b32 s3, -1, 0
	s_cmp_eq_u32 s2, 0
	s_wait_alu 0xfffd
	v_cndmask_b32_e32 v5, v2, v32, vcc_lo
	v_cmp_lt_i32_e32 vcc_lo, v28, v9
	s_cselect_b32 s4, -1, 0
	s_wait_alu 0xfffe
	s_and_b32 s3, s4, s3
	v_lshlrev_b32_e32 v5, 2, v5
	s_wait_alu 0xfffd
	v_cndmask_b32_e32 v7, v2, v28, vcc_lo
	v_cmp_lt_i32_e32 vcc_lo, v29, v9
	ds_bpermute_b32 v6, v5, v33
	ds_bpermute_b32 v5, v5, v27
	s_wait_alu 0xfffd
	v_cndmask_b32_e32 v15, v2, v29, vcc_lo
	v_cmp_lt_i32_e32 vcc_lo, v30, v9
	s_wait_dscnt 0x1
	s_delay_alu instid0(VALU_DEP_2)
	v_dual_add_f32 v6, v33, v6 :: v_dual_lshlrev_b32 v15, 2, v15
	v_lshlrev_b32_e32 v7, 2, v7
	s_wait_dscnt 0x0
	v_add_f32_e32 v5, v27, v5
	ds_bpermute_b32 v13, v7, v6
	s_wait_dscnt 0x0
	v_add_f32_e32 v6, v6, v13
	ds_bpermute_b32 v7, v7, v5
	;; [unrolled: 3-line block ×3, first 2 shown]
	ds_bpermute_b32 v13, v15, v5
	s_wait_alu 0xfffd
	v_cndmask_b32_e32 v15, v2, v30, vcc_lo
	v_cmp_lt_i32_e32 vcc_lo, v31, v9
	s_delay_alu instid0(VALU_DEP_2)
	v_lshlrev_b32_e32 v15, 2, v15
	s_wait_alu 0xfffd
	v_cndmask_b32_e32 v2, v2, v31, vcc_lo
	s_wait_alu 0xfffe
	s_and_b32 vcc_lo, exec_lo, s3
	s_mov_b32 s3, 0
	s_delay_alu instid0(VALU_DEP_1)
	v_lshlrev_b32_e32 v2, 2, v2
	s_wait_dscnt 0x1
	v_add_f32_e32 v6, v6, v7
	ds_bpermute_b32 v7, v15, v6
	s_wait_dscnt 0x0
	v_dual_add_f32 v5, v5, v13 :: v_dual_add_f32 v6, v6, v7
	ds_bpermute_b32 v13, v15, v5
	s_wait_dscnt 0x0
	v_add_f32_e32 v7, v5, v13
	ds_bpermute_b32 v5, v2, v6
	ds_bpermute_b32 v2, v2, v7
	s_wait_dscnt 0x0
	v_dual_add_f32 v5, v6, v5 :: v_dual_add_f32 v6, v7, v2
	v_add_nc_u32_e32 v7, s33, v8
	s_wait_alu 0xfffe
	s_cbranch_vccnz .LBB20_27
; %bb.25:
	s_delay_alu instid0(VALU_DEP_2)
	v_dual_mov_b32 v9, v6 :: v_dual_add_nc_u32 v2, s33, v8
	v_mov_b32_e32 v8, v5
	s_and_not1_b32 vcc_lo, exec_lo, s3
	s_wait_alu 0xfffe
	s_cbranch_vccz .LBB20_28
; %bb.26:
	v_mov_b32_e32 v7, v2
	s_branch .LBB20_29
.LBB20_27:
                                        ; implicit-def: $vgpr2
                                        ; implicit-def: $vgpr8_vgpr9
.LBB20_28:
	s_delay_alu instid0(VALU_DEP_1) | instskip(NEXT) | instid1(VALU_DEP_1)
	v_ashrrev_i32_e32 v8, 31, v7
	v_lshlrev_b64_e32 v[8:9], 2, v[7:8]
	s_delay_alu instid0(VALU_DEP_1) | instskip(SKIP_1) | instid1(VALU_DEP_2)
	v_add_co_u32 v8, vcc_lo, s12, v8
	s_wait_alu 0xfffd
	v_add_co_ci_u32_e64 v9, null, s13, v9, vcc_lo
	global_load_b64 v[8:9], v[8:9], off
	v_max_num_f32_e32 v2, v3, v3
	s_wait_loadcnt 0x0
	v_dual_max_num_f32 v16, v4, v4 :: v_dual_max_num_f32 v17, v9, v9
	v_max_num_f32_e32 v13, v8, v8
	s_delay_alu instid0(VALU_DEP_2) | instskip(NEXT) | instid1(VALU_DEP_1)
	v_max_num_f32_e32 v16, v16, v17
	v_dual_max_num_f32 v15, v2, v13 :: v_dual_sub_f32 v4, v4, v16
	s_delay_alu instid0(VALU_DEP_1) | instskip(SKIP_1) | instid1(VALU_DEP_1)
	v_sub_f32_e32 v2, v3, v15
	v_sub_f32_e32 v3, v8, v15
	v_mul_f32_e32 v13, 0x3fb8aa3b, v3
	s_delay_alu instid0(VALU_DEP_3) | instskip(SKIP_2) | instid1(VALU_DEP_4)
	v_dual_sub_f32 v9, v9, v16 :: v_dual_mul_f32 v8, 0x3fb8aa3b, v2
	v_mul_f32_e32 v17, 0x3fb8aa3b, v4
	v_cmp_ngt_f32_e32 vcc_lo, 0xc2ce8ed0, v2
	v_fma_f32 v21, 0x3fb8aa3b, v3, -v13
	s_delay_alu instid0(VALU_DEP_4)
	v_mul_f32_e32 v18, 0x3fb8aa3b, v9
	v_fma_f32 v19, 0x3fb8aa3b, v2, -v8
	v_rndne_f32_e32 v20, v8
	v_fma_f32 v23, 0x3fb8aa3b, v4, -v17
	v_rndne_f32_e32 v24, v17
	v_fma_f32 v26, 0x3fb8aa3b, v9, -v18
	s_delay_alu instid0(VALU_DEP_4) | instskip(NEXT) | instid1(VALU_DEP_4)
	v_dual_fmac_f32 v19, 0x32a5705f, v2 :: v_dual_sub_f32 v8, v8, v20
	v_fmac_f32_e32 v23, 0x32a5705f, v4
	s_delay_alu instid0(VALU_DEP_3) | instskip(SKIP_1) | instid1(VALU_DEP_4)
	v_dual_sub_f32 v17, v17, v24 :: v_dual_fmac_f32 v26, 0x32a5705f, v9
	v_rndne_f32_e32 v25, v13
	v_add_f32_e32 v8, v8, v19
	v_cvt_i32_f32_e32 v19, v20
	v_rndne_f32_e32 v27, v18
	v_cvt_i32_f32_e32 v20, v24
	v_sub_f32_e32 v13, v13, v25
	v_exp_f32_e32 v8, v8
	s_delay_alu instid0(VALU_DEP_3) | instskip(NEXT) | instid1(VALU_DEP_1)
	v_sub_f32_e32 v18, v18, v27
	v_dual_fmac_f32 v21, 0x32a5705f, v3 :: v_dual_add_f32 v18, v18, v26
	s_delay_alu instid0(TRANS32_DEP_1) | instskip(SKIP_1) | instid1(VALU_DEP_3)
	v_ldexp_f32 v8, v8, v19
	v_add_f32_e32 v17, v17, v23
	v_exp_f32_e32 v18, v18
	v_cvt_i32_f32_e32 v19, v27
	s_wait_alu 0xfffd
	v_cndmask_b32_e32 v8, 0, v8, vcc_lo
	v_exp_f32_e32 v17, v17
	v_cmp_ngt_f32_e32 vcc_lo, 0xc2ce8ed0, v4
	s_delay_alu instid0(TRANS32_DEP_1) | instskip(SKIP_1) | instid1(VALU_DEP_1)
	v_ldexp_f32 v17, v17, v20
	s_wait_alu 0xfffd
	v_cndmask_b32_e32 v17, 0, v17, vcc_lo
	v_cmp_nlt_f32_e32 vcc_lo, 0x42b17218, v2
	v_add_f32_e32 v13, v13, v21
	v_cvt_i32_f32_e32 v21, v25
	s_wait_alu 0xfffd
	v_cndmask_b32_e32 v2, 0x7f800000, v8, vcc_lo
	s_delay_alu instid0(VALU_DEP_3)
	v_exp_f32_e32 v13, v13
	v_cmp_nlt_f32_e32 vcc_lo, 0x42b17218, v4
	v_ldexp_f32 v4, v18, v19
	s_wait_alu 0xfffd
	v_cndmask_b32_e32 v17, 0x7f800000, v17, vcc_lo
	v_cmp_ngt_f32_e32 vcc_lo, 0xc2ce8ed0, v3
	s_delay_alu instid0(TRANS32_DEP_1) | instskip(SKIP_1) | instid1(VALU_DEP_1)
	v_ldexp_f32 v13, v13, v21
	s_wait_alu 0xfffd
	v_cndmask_b32_e32 v8, 0, v13, vcc_lo
	v_cmp_ngt_f32_e32 vcc_lo, 0xc2ce8ed0, v9
	v_cvt_f16_f32_e32 v13, v2
	s_wait_alu 0xfffd
	v_cndmask_b32_e32 v4, 0, v4, vcc_lo
	v_cmp_nlt_f32_e32 vcc_lo, 0x42b17218, v3
	s_delay_alu instid0(VALU_DEP_3) | instskip(SKIP_3) | instid1(VALU_DEP_2)
	v_and_b32_e32 v3, 0xffff, v13
	s_wait_alu 0xfffd
	v_cndmask_b32_e32 v8, 0x7f800000, v8, vcc_lo
	v_cmp_nlt_f32_e32 vcc_lo, 0x42b17218, v9
	v_fmac_f32_e32 v8, v5, v2
	v_cvt_f16_f32_e32 v18, v17
	s_wait_alu 0xfffd
	v_cndmask_b32_e32 v9, 0x7f800000, v4, vcc_lo
	v_mul_u32_u24_e32 v2, 0x10001, v3
	v_dual_mov_b32 v3, v15 :: v_dual_mov_b32 v4, v16
	v_and_b32_e32 v13, 0xffff, v18
	s_delay_alu instid0(VALU_DEP_4)
	v_fmac_f32_e32 v9, v6, v17
	v_mov_b32_e32 v5, v8
	v_pk_mul_f16 v14, v14, v2
	v_pk_mul_f16 v22, v22, v2
	v_mul_u32_u24_e32 v13, 0x10001, v13
	v_mov_b32_e32 v6, v9
	s_delay_alu instid0(VALU_DEP_2)
	v_pk_mul_f16 v11, v11, v13
	v_pk_mul_f16 v12, v12, v13
.LBB20_29:
	s_load_b32 s1, s[0:1], 0xd4
	v_mov_b32_e32 v13, 1.0
	s_wait_kmcnt 0x0
	s_cmp_lg_u32 s1, 1
	s_cselect_b32 s4, -1, 0
	s_cmp_eq_u32 s1, 1
	s_cselect_b32 s3, -1, 0
	s_wait_alu 0xfffe
	s_and_b32 vcc_lo, exec_lo, s4
	s_wait_alu 0xfffe
	s_cbranch_vccnz .LBB20_31
; %bb.30:
	v_div_scale_f32 v2, null, v5, v5, 1.0
	s_delay_alu instid0(VALU_DEP_1) | instskip(NEXT) | instid1(TRANS32_DEP_1)
	v_rcp_f32_e32 v13, v2
	v_fma_f32 v15, -v2, v13, 1.0
	s_delay_alu instid0(VALU_DEP_1) | instskip(SKIP_1) | instid1(VALU_DEP_1)
	v_fmac_f32_e32 v13, v15, v13
	v_div_scale_f32 v15, vcc_lo, 1.0, v5, 1.0
	v_mul_f32_e32 v16, v15, v13
	s_delay_alu instid0(VALU_DEP_1) | instskip(NEXT) | instid1(VALU_DEP_1)
	v_fma_f32 v17, -v2, v16, v15
	v_fmac_f32_e32 v16, v17, v13
	s_delay_alu instid0(VALU_DEP_1) | instskip(SKIP_1) | instid1(VALU_DEP_1)
	v_fma_f32 v2, -v2, v16, v15
	s_wait_alu 0xfffd
	v_div_fmas_f32 v2, v2, v13, v16
	s_delay_alu instid0(VALU_DEP_1)
	v_div_fixup_f32 v13, v2, v5, 1.0
.LBB20_31:
	v_mad_co_u64_u32 v[1:2], null, s28, s22, v[1:2]
	v_cmp_eq_u32_e32 vcc_lo, 0, v0
	v_lshrrev_b32_e32 v0, 16, v14
	v_cvt_f32_f16_e32 v5, v14
	s_delay_alu instid0(VALU_DEP_2) | instskip(SKIP_4) | instid1(VALU_DEP_4)
	v_cvt_f32_f16_e32 v0, v0
	v_mad_co_u64_u32 v[1:2], null, v1, s23, v[7:8]
	v_mov_b32_e32 v16, 0
	v_cvt_f32_f16_e32 v7, v22
	v_mul_f32_e32 v14, v13, v5
	v_mad_co_u64_u32 v[1:2], null, s1, v1, s[2:3]
	v_lshrrev_b32_e32 v2, 16, v22
	s_delay_alu instid0(VALU_DEP_1) | instskip(NEXT) | instid1(VALU_DEP_3)
	v_cvt_f32_f16_e32 v2, v2
	v_lshl_add_u32 v15, v1, 7, v10
	s_delay_alu instid0(VALU_DEP_2) | instskip(NEXT) | instid1(VALU_DEP_2)
	v_mul_f32_e32 v17, v13, v2
	v_lshlrev_b64_e32 v[18:19], 2, v[15:16]
	v_mul_f32_e32 v16, v13, v7
	v_mul_f32_e32 v15, v13, v0
	s_delay_alu instid0(VALU_DEP_3) | instskip(SKIP_1) | instid1(VALU_DEP_4)
	v_add_co_u32 v18, s0, s16, v18
	s_wait_alu 0xf1ff
	v_add_co_ci_u32_e64 v19, null, s17, v19, s0
	s_and_b32 s0, vcc_lo, s4
	global_store_b128 v[18:19], v[14:17], off
	s_wait_alu 0xfffe
	s_and_saveexec_b32 s2, s0
	s_cbranch_execz .LBB20_33
; %bb.32:
	v_ashrrev_i32_e32 v2, 31, v1
	s_delay_alu instid0(VALU_DEP_1) | instskip(SKIP_1) | instid1(VALU_DEP_2)
	v_lshlrev_b64_e32 v[13:14], 3, v[1:2]
	v_dual_mov_b32 v2, v3 :: v_dual_mov_b32 v3, v8
	v_add_co_u32 v13, vcc_lo, s18, v13
	s_wait_alu 0xfffd
	s_delay_alu instid0(VALU_DEP_3)
	v_add_co_ci_u32_e64 v14, null, s19, v14, vcc_lo
	global_store_b64 v[13:14], v[2:3], off
.LBB20_33:
	s_wait_alu 0xfffe
	s_or_b32 exec_lo, exec_lo, s2
	v_mov_b32_e32 v2, 1.0
	s_and_not1_b32 vcc_lo, exec_lo, s3
	s_wait_alu 0xfffe
	s_cbranch_vccnz .LBB20_35
; %bb.34:
	v_div_scale_f32 v0, null, v6, v6, 1.0
	s_delay_alu instid0(VALU_DEP_1) | instskip(NEXT) | instid1(TRANS32_DEP_1)
	v_rcp_f32_e32 v2, v0
	v_fma_f32 v3, -v0, v2, 1.0
	s_delay_alu instid0(VALU_DEP_1) | instskip(SKIP_1) | instid1(VALU_DEP_1)
	v_fmac_f32_e32 v2, v3, v2
	v_div_scale_f32 v3, vcc_lo, 1.0, v6, 1.0
	v_mul_f32_e32 v5, v3, v2
	s_delay_alu instid0(VALU_DEP_1) | instskip(NEXT) | instid1(VALU_DEP_1)
	v_fma_f32 v7, -v0, v5, v3
	v_fmac_f32_e32 v5, v7, v2
	s_delay_alu instid0(VALU_DEP_1) | instskip(SKIP_1) | instid1(VALU_DEP_1)
	v_fma_f32 v0, -v0, v5, v3
	s_wait_alu 0xfffd
	v_div_fmas_f32 v0, v0, v2, v5
	s_delay_alu instid0(VALU_DEP_1)
	v_div_fixup_f32 v2, v0, v6, 1.0
.LBB20_35:
	v_cvt_f32_f16_e32 v7, v11
	v_add_nc_u32_e32 v0, s1, v1
	v_cvt_f32_f16_e32 v8, v12
	v_mov_b32_e32 v6, 0
	v_lshrrev_b32_e32 v1, 16, v11
	v_lshrrev_b32_e32 v3, 16, v12
	v_lshl_add_u32 v5, v0, 7, v10
	s_delay_alu instid0(VALU_DEP_3) | instskip(NEXT) | instid1(VALU_DEP_3)
	v_cvt_f32_f16_e32 v1, v1
	v_cvt_f32_f16_e32 v3, v3
	s_delay_alu instid0(VALU_DEP_3)
	v_lshlrev_b64_e32 v[10:11], 2, v[5:6]
	v_mul_f32_e32 v5, v2, v7
	v_mul_f32_e32 v7, v2, v8
	;; [unrolled: 1-line block ×4, first 2 shown]
	v_add_co_u32 v1, vcc_lo, s16, v10
	s_wait_alu 0xfffd
	v_add_co_ci_u32_e64 v2, null, s17, v11, vcc_lo
	global_store_b128 v[1:2], v[5:8], off
	s_and_saveexec_b32 s1, s0
	s_cbranch_execz .LBB20_37
; %bb.36:
	v_ashrrev_i32_e32 v1, 31, v0
	v_mov_b32_e32 v8, v4
	s_delay_alu instid0(VALU_DEP_2) | instskip(NEXT) | instid1(VALU_DEP_1)
	v_lshlrev_b64_e32 v[0:1], 3, v[0:1]
	v_add_co_u32 v0, vcc_lo, s18, v0
	s_wait_alu 0xfffd
	s_delay_alu instid0(VALU_DEP_2)
	v_add_co_ci_u32_e64 v1, null, s19, v1, vcc_lo
	global_store_b64 v[0:1], v[8:9], off
.LBB20_37:
	s_nop 0
	s_sendmsg sendmsg(MSG_DEALLOC_VGPRS)
	s_endpgm
	.section	.rodata,"a",@progbits
	.p2align	6, 0x0
	.amdhsa_kernel _ZL15flash_attn_tileILi192ELi128ELi1ELi16ELb1EEvPKcS1_S1_S1_S1_PKiPfP15HIP_vector_typeIfLj2EEffffjfiS5_IjLj3EEiiiiiiiiiiiliiliiiiil
		.amdhsa_group_segment_fixed_size 11776
		.amdhsa_private_segment_fixed_size 0
		.amdhsa_kernarg_size 464
		.amdhsa_user_sgpr_count 2
		.amdhsa_user_sgpr_dispatch_ptr 0
		.amdhsa_user_sgpr_queue_ptr 0
		.amdhsa_user_sgpr_kernarg_segment_ptr 1
		.amdhsa_user_sgpr_dispatch_id 0
		.amdhsa_user_sgpr_private_segment_size 0
		.amdhsa_wavefront_size32 1
		.amdhsa_uses_dynamic_stack 0
		.amdhsa_enable_private_segment 0
		.amdhsa_system_sgpr_workgroup_id_x 1
		.amdhsa_system_sgpr_workgroup_id_y 1
		.amdhsa_system_sgpr_workgroup_id_z 1
		.amdhsa_system_sgpr_workgroup_info 0
		.amdhsa_system_vgpr_workitem_id 1
		.amdhsa_next_free_vgpr 103
		.amdhsa_next_free_sgpr 43
		.amdhsa_reserve_vcc 1
		.amdhsa_float_round_mode_32 0
		.amdhsa_float_round_mode_16_64 0
		.amdhsa_float_denorm_mode_32 3
		.amdhsa_float_denorm_mode_16_64 3
		.amdhsa_fp16_overflow 0
		.amdhsa_workgroup_processor_mode 1
		.amdhsa_memory_ordered 1
		.amdhsa_forward_progress 1
		.amdhsa_inst_pref_size 69
		.amdhsa_round_robin_scheduling 0
		.amdhsa_exception_fp_ieee_invalid_op 0
		.amdhsa_exception_fp_denorm_src 0
		.amdhsa_exception_fp_ieee_div_zero 0
		.amdhsa_exception_fp_ieee_overflow 0
		.amdhsa_exception_fp_ieee_underflow 0
		.amdhsa_exception_fp_ieee_inexact 0
		.amdhsa_exception_int_div_zero 0
	.end_amdhsa_kernel
	.section	.text._ZL15flash_attn_tileILi192ELi128ELi1ELi16ELb1EEvPKcS1_S1_S1_S1_PKiPfP15HIP_vector_typeIfLj2EEffffjfiS5_IjLj3EEiiiiiiiiiiiliiliiiiil,"axG",@progbits,_ZL15flash_attn_tileILi192ELi128ELi1ELi16ELb1EEvPKcS1_S1_S1_S1_PKiPfP15HIP_vector_typeIfLj2EEffffjfiS5_IjLj3EEiiiiiiiiiiiliiliiiiil,comdat
.Lfunc_end20:
	.size	_ZL15flash_attn_tileILi192ELi128ELi1ELi16ELb1EEvPKcS1_S1_S1_S1_PKiPfP15HIP_vector_typeIfLj2EEffffjfiS5_IjLj3EEiiiiiiiiiiiliiliiiiil, .Lfunc_end20-_ZL15flash_attn_tileILi192ELi128ELi1ELi16ELb1EEvPKcS1_S1_S1_S1_PKiPfP15HIP_vector_typeIfLj2EEffffjfiS5_IjLj3EEiiiiiiiiiiiliiliiiiil
                                        ; -- End function
	.set _ZL15flash_attn_tileILi192ELi128ELi1ELi16ELb1EEvPKcS1_S1_S1_S1_PKiPfP15HIP_vector_typeIfLj2EEffffjfiS5_IjLj3EEiiiiiiiiiiiliiliiiiil.num_vgpr, 103
	.set _ZL15flash_attn_tileILi192ELi128ELi1ELi16ELb1EEvPKcS1_S1_S1_S1_PKiPfP15HIP_vector_typeIfLj2EEffffjfiS5_IjLj3EEiiiiiiiiiiiliiliiiiil.num_agpr, 0
	.set _ZL15flash_attn_tileILi192ELi128ELi1ELi16ELb1EEvPKcS1_S1_S1_S1_PKiPfP15HIP_vector_typeIfLj2EEffffjfiS5_IjLj3EEiiiiiiiiiiiliiliiiiil.numbered_sgpr, 43
	.set _ZL15flash_attn_tileILi192ELi128ELi1ELi16ELb1EEvPKcS1_S1_S1_S1_PKiPfP15HIP_vector_typeIfLj2EEffffjfiS5_IjLj3EEiiiiiiiiiiiliiliiiiil.num_named_barrier, 0
	.set _ZL15flash_attn_tileILi192ELi128ELi1ELi16ELb1EEvPKcS1_S1_S1_S1_PKiPfP15HIP_vector_typeIfLj2EEffffjfiS5_IjLj3EEiiiiiiiiiiiliiliiiiil.private_seg_size, 0
	.set _ZL15flash_attn_tileILi192ELi128ELi1ELi16ELb1EEvPKcS1_S1_S1_S1_PKiPfP15HIP_vector_typeIfLj2EEffffjfiS5_IjLj3EEiiiiiiiiiiiliiliiiiil.uses_vcc, 1
	.set _ZL15flash_attn_tileILi192ELi128ELi1ELi16ELb1EEvPKcS1_S1_S1_S1_PKiPfP15HIP_vector_typeIfLj2EEffffjfiS5_IjLj3EEiiiiiiiiiiiliiliiiiil.uses_flat_scratch, 0
	.set _ZL15flash_attn_tileILi192ELi128ELi1ELi16ELb1EEvPKcS1_S1_S1_S1_PKiPfP15HIP_vector_typeIfLj2EEffffjfiS5_IjLj3EEiiiiiiiiiiiliiliiiiil.has_dyn_sized_stack, 0
	.set _ZL15flash_attn_tileILi192ELi128ELi1ELi16ELb1EEvPKcS1_S1_S1_S1_PKiPfP15HIP_vector_typeIfLj2EEffffjfiS5_IjLj3EEiiiiiiiiiiiliiliiiiil.has_recursion, 0
	.set _ZL15flash_attn_tileILi192ELi128ELi1ELi16ELb1EEvPKcS1_S1_S1_S1_PKiPfP15HIP_vector_typeIfLj2EEffffjfiS5_IjLj3EEiiiiiiiiiiiliiliiiiil.has_indirect_call, 0
	.section	.AMDGPU.csdata,"",@progbits
; Kernel info:
; codeLenInByte = 8792
; TotalNumSgprs: 45
; NumVgprs: 103
; ScratchSize: 0
; MemoryBound: 0
; FloatMode: 240
; IeeeMode: 1
; LDSByteSize: 11776 bytes/workgroup (compile time only)
; SGPRBlocks: 0
; VGPRBlocks: 12
; NumSGPRsForWavesPerEU: 45
; NumVGPRsForWavesPerEU: 103
; Occupancy: 12
; WaveLimiterHint : 1
; COMPUTE_PGM_RSRC2:SCRATCH_EN: 0
; COMPUTE_PGM_RSRC2:USER_SGPR: 2
; COMPUTE_PGM_RSRC2:TRAP_HANDLER: 0
; COMPUTE_PGM_RSRC2:TGID_X_EN: 1
; COMPUTE_PGM_RSRC2:TGID_Y_EN: 1
; COMPUTE_PGM_RSRC2:TGID_Z_EN: 1
; COMPUTE_PGM_RSRC2:TIDIG_COMP_CNT: 1
	.section	.text._ZL15flash_attn_tileILi192ELi128ELi4ELi8ELb1EEvPKcS1_S1_S1_S1_PKiPfP15HIP_vector_typeIfLj2EEffffjfiS5_IjLj3EEiiiiiiiiiiiliiliiiiil,"axG",@progbits,_ZL15flash_attn_tileILi192ELi128ELi4ELi8ELb1EEvPKcS1_S1_S1_S1_PKiPfP15HIP_vector_typeIfLj2EEffffjfiS5_IjLj3EEiiiiiiiiiiiliiliiiiil,comdat
	.globl	_ZL15flash_attn_tileILi192ELi128ELi4ELi8ELb1EEvPKcS1_S1_S1_S1_PKiPfP15HIP_vector_typeIfLj2EEffffjfiS5_IjLj3EEiiiiiiiiiiiliiliiiiil ; -- Begin function _ZL15flash_attn_tileILi192ELi128ELi4ELi8ELb1EEvPKcS1_S1_S1_S1_PKiPfP15HIP_vector_typeIfLj2EEffffjfiS5_IjLj3EEiiiiiiiiiiiliiliiiiil
	.p2align	8
	.type	_ZL15flash_attn_tileILi192ELi128ELi4ELi8ELb1EEvPKcS1_S1_S1_S1_PKiPfP15HIP_vector_typeIfLj2EEffffjfiS5_IjLj3EEiiiiiiiiiiiliiliiiiil,@function
_ZL15flash_attn_tileILi192ELi128ELi4ELi8ELb1EEvPKcS1_S1_S1_S1_PKiPfP15HIP_vector_typeIfLj2EEffffjfiS5_IjLj3EEiiiiiiiiiiiliiliiiiil: ; @_ZL15flash_attn_tileILi192ELi128ELi4ELi8ELb1EEvPKcS1_S1_S1_S1_PKiPfP15HIP_vector_typeIfLj2EEffffjfiS5_IjLj3EEiiiiiiiiiiiliiliiiiil
; %bb.0:
	s_clause 0x1
	s_load_b128 s[20:23], s[0:1], 0x5c
	s_load_b64 s[30:31], s[0:1], 0x80
	s_lshr_b32 s5, ttmp7, 16
	s_mov_b32 s37, 0
	s_mov_b64 s[34:35], 0
	s_wait_kmcnt 0x0
	s_ashr_i32 s2, s23, 31
	s_delay_alu instid0(SALU_CYCLE_1) | instskip(NEXT) | instid1(SALU_CYCLE_1)
	s_lshr_b32 s2, s2, 29
	s_add_co_i32 s2, s23, s2
	s_delay_alu instid0(SALU_CYCLE_1) | instskip(NEXT) | instid1(SALU_CYCLE_1)
	s_ashr_i32 s2, s2, 3
	s_cvt_f32_u32 s3, s2
	s_sub_co_i32 s4, 0, s2
	s_delay_alu instid0(SALU_CYCLE_2) | instskip(NEXT) | instid1(TRANS32_DEP_1)
	v_rcp_iflag_f32_e32 v1, s3
	v_readfirstlane_b32 s3, v1
	s_mul_f32 s3, s3, 0x4f7ffffe
	s_wait_alu 0xfffe
	s_delay_alu instid0(SALU_CYCLE_2) | instskip(SKIP_1) | instid1(SALU_CYCLE_2)
	s_cvt_u32_f32 s3, s3
	s_wait_alu 0xfffe
	s_mul_i32 s4, s4, s3
	s_delay_alu instid0(SALU_CYCLE_1) | instskip(NEXT) | instid1(SALU_CYCLE_1)
	s_mul_hi_u32 s4, s3, s4
	s_add_co_i32 s3, s3, s4
	s_wait_alu 0xfffe
	s_mul_hi_u32 s3, s5, s3
	s_wait_alu 0xfffe
	s_mul_i32 s4, s3, s2
	s_add_co_i32 s6, s3, 1
	s_sub_co_i32 s4, s5, s4
	s_delay_alu instid0(SALU_CYCLE_1)
	s_sub_co_i32 s7, s4, s2
	s_cmp_ge_u32 s4, s2
	s_cselect_b32 s3, s6, s3
	s_cselect_b32 s4, s7, s4
	s_wait_alu 0xfffe
	s_add_co_i32 s6, s3, 1
	s_cmp_ge_u32 s4, s2
	s_cselect_b32 s28, s6, s3
	s_abs_i32 s2, s31
	s_abs_i32 s7, s23
	s_wait_alu 0xfffe
	s_cvt_f32_u32 s3, s2
	s_sub_co_i32 s4, 0, s2
	s_lshl_b32 s5, s5, 3
	s_mul_i32 s6, s28, s23
	s_wait_alu 0xfffe
	v_rcp_iflag_f32_e32 v1, s3
	s_sub_co_i32 s33, s5, s6
	s_delay_alu instid0(TRANS32_DEP_1) | instskip(SKIP_2) | instid1(SALU_CYCLE_2)
	v_readfirstlane_b32 s3, v1
	s_mul_f32 s3, s3, 0x4f7ffffe
	s_wait_alu 0xfffe
	s_cvt_u32_f32 s3, s3
	s_wait_alu 0xfffe
	s_delay_alu instid0(SALU_CYCLE_2) | instskip(NEXT) | instid1(SALU_CYCLE_1)
	s_mul_i32 s4, s4, s3
	s_mul_hi_u32 s4, s3, s4
	s_delay_alu instid0(SALU_CYCLE_1)
	s_add_co_i32 s3, s3, s4
	s_xor_b32 s4, s23, s31
	s_wait_alu 0xfffe
	s_mul_hi_u32 s3, s7, s3
	s_ashr_i32 s24, s4, 31
	s_wait_alu 0xfffe
	s_mul_i32 s5, s3, s2
	s_delay_alu instid0(SALU_CYCLE_1)
	s_sub_co_i32 s4, s7, s5
	s_add_co_i32 s5, s3, 1
	s_sub_co_i32 s6, s4, s2
	s_cmp_ge_u32 s4, s2
	s_cselect_b32 s3, s5, s3
	s_cselect_b32 s4, s6, s4
	s_wait_alu 0xfffe
	s_add_co_i32 s5, s3, 1
	s_cmp_ge_u32 s4, s2
	s_cselect_b32 s2, s5, s3
	s_load_b512 s[4:19], s[0:1], 0x0
	s_xor_b32 s2, s2, s24
	s_wait_alu 0xfffe
	s_sub_co_i32 s39, s2, s24
	s_load_b64 s[2:3], s[0:1], 0xb8
	s_abs_i32 s38, s39
	s_delay_alu instid0(SALU_CYCLE_1) | instskip(NEXT) | instid1(SALU_CYCLE_3)
	s_cvt_f32_u32 s24, s38
	v_rcp_iflag_f32_e32 v1, s24
	s_wait_kmcnt 0x0
	s_cmp_eq_u64 s[10:11], 0
	s_delay_alu instid0(TRANS32_DEP_1)
	v_readfirstlane_b32 s24, v1
	s_cbranch_scc1 .LBB21_2
; %bb.1:
	s_abs_i32 s2, s2
	s_wait_alu 0xfffe
	s_cvt_f32_u32 s25, s2
	s_sub_co_i32 s26, 0, s2
	s_wait_alu 0xfffe
	s_delay_alu instid0(SALU_CYCLE_1) | instskip(NEXT) | instid1(TRANS32_DEP_1)
	v_rcp_iflag_f32_e32 v1, s25
	v_readfirstlane_b32 s25, v1
	s_mul_f32 s25, s25, 0x4f7ffffe
	s_wait_alu 0xfffe
	s_delay_alu instid0(SALU_CYCLE_2) | instskip(SKIP_1) | instid1(SALU_CYCLE_2)
	s_cvt_u32_f32 s25, s25
	s_wait_alu 0xfffe
	s_mul_i32 s26, s26, s25
	s_delay_alu instid0(SALU_CYCLE_1)
	s_mul_hi_u32 s29, s25, s26
	s_load_b64 s[26:27], s[0:1], 0xc8
	s_add_co_i32 s25, s25, s29
	s_wait_alu 0xfffe
	s_mul_hi_u32 s25, s28, s25
	s_wait_alu 0xfffe
	s_mul_i32 s25, s25, s2
	s_wait_alu 0xfffe
	s_sub_co_i32 s25, s28, s25
	s_wait_alu 0xfffe
	s_sub_co_i32 s29, s25, s2
	s_cmp_ge_u32 s25, s2
	s_cselect_b32 s25, s29, s25
	s_wait_alu 0xfffe
	s_sub_co_i32 s29, s25, s2
	s_cmp_ge_u32 s25, s2
	s_cselect_b32 s34, s29, s25
	s_delay_alu instid0(SALU_CYCLE_1) | instskip(SKIP_2) | instid1(SALU_CYCLE_1)
	s_ashr_i32 s35, s34, 31
	s_wait_kmcnt 0x0
	s_mul_u64 s[26:27], s[26:27], s[34:35]
	s_add_nc_u64 s[34:35], s[10:11], s[26:27]
.LBB21_2:
	v_lshrrev_b32_e32 v1, 10, v0
	s_load_b96 s[40:42], s[0:1], 0x70
	v_bfe_u32 v2, v0, 10, 10
	v_and_b32_e32 v13, 0x3ff, v0
	s_delay_alu instid0(VALU_DEP_3) | instskip(NEXT) | instid1(VALU_DEP_3)
	v_bfe_u32 v1, v1, 1, 9
	v_mul_u32_u24_e32 v18, 0x600, v2
	s_delay_alu instid0(VALU_DEP_3) | instskip(SKIP_1) | instid1(VALU_DEP_4)
	v_lshlrev_b32_e32 v8, 4, v13
	v_lshlrev_b32_e32 v11, 3, v13
	v_lshl_add_u32 v12, ttmp9, 2, v1
	v_lshlrev_b32_e32 v4, 2, v2
	s_delay_alu instid0(VALU_DEP_3) | instskip(NEXT) | instid1(VALU_DEP_3)
	v_mad_u32_u24 v14, 0x600, v2, v11
	v_mul_hi_u32 v1, s20, v12
	s_delay_alu instid0(VALU_DEP_3) | instskip(SKIP_3) | instid1(VALU_DEP_2)
	v_and_b32_e32 v16, 4, v4
	s_wait_kmcnt 0x0
	s_mul_i32 s20, s33, s41
	s_ashr_i32 s27, s41, 31
	v_add_nc_u32_e32 v1, v12, v1
	s_mov_b32 s26, s41
	s_ashr_i32 s41, s40, 31
	s_delay_alu instid0(SALU_CYCLE_1) | instskip(NEXT) | instid1(VALU_DEP_1)
	s_lshr_b64 s[10:11], s[40:41], 2
	v_lshrrev_b32_e32 v1, s21, v1
	s_lshr_b32 s2, s41, 2
	s_mul_i32 s40, s28, s42
	s_wait_alu 0xfffe
	s_ashr_i32 s21, s20, 31
	s_ashr_i32 s41, s40, 31
	v_mul_lo_u32 v1, v1, s22
	s_add_nc_u64 s[4:5], s[4:5], s[40:41]
	s_wait_alu 0xfffe
	s_add_nc_u64 s[4:5], s[4:5], s[20:21]
	s_delay_alu instid0(VALU_DEP_1) | instskip(NEXT) | instid1(VALU_DEP_1)
	v_sub_nc_u32_e32 v3, v12, v1
	v_mad_co_u64_u32 v[5:6], null, s10, v3, 0
	s_lshr_b64 s[10:11], s[26:27], 2
	v_mov_b32_e32 v1, v6
	s_delay_alu instid0(VALU_DEP_1) | instskip(SKIP_3) | instid1(VALU_DEP_3)
	v_mad_co_u64_u32 v[6:7], null, s2, v3, v[1:2]
	s_wait_alu 0xfffe
	v_mad_co_u64_u32 v[0:1], null, s10, v16, 0
	v_mul_i32_i24_e32 v7, s27, v16
	v_lshlrev_b64_e32 v[5:6], 2, v[5:6]
	s_delay_alu instid0(VALU_DEP_2) | instskip(NEXT) | instid1(VALU_DEP_2)
	v_or_b32_e32 v1, v1, v7
	v_add_co_u32 v5, vcc_lo, s4, v5
	s_delay_alu instid0(VALU_DEP_1) | instskip(NEXT) | instid1(VALU_DEP_3)
	v_add_co_ci_u32_e64 v6, null, s5, v6, vcc_lo
	v_lshlrev_b64_e32 v[0:1], 2, v[0:1]
	s_delay_alu instid0(VALU_DEP_3) | instskip(SKIP_1) | instid1(VALU_DEP_3)
	v_add_co_u32 v5, vcc_lo, v5, v8
	s_wait_alu 0xfffd
	v_add_co_ci_u32_e64 v6, null, 0, v6, vcc_lo
	s_load_b32 s4, s[0:1], 0x40
	v_add_co_u32 v0, vcc_lo, v5, v0
	s_wait_alu 0xfffd
	v_add_co_ci_u32_e64 v1, null, v6, v1, vcc_lo
	v_cmp_gt_u32_e32 vcc_lo, 16, v13
	global_load_b128 v[7:10], v[0:1], off
	s_wait_loadcnt 0x0
	s_wait_kmcnt 0x0
	v_fma_mixlo_f16 v8, s4, v8, 0
	v_fma_mixlo_f16 v7, s4, v7, 0
	;; [unrolled: 1-line block ×4, first 2 shown]
	s_delay_alu instid0(VALU_DEP_4) | instskip(NEXT) | instid1(VALU_DEP_4)
	v_lshlrev_b32_e32 v8, 16, v8
	v_and_b32_e32 v7, 0xffff, v7
	s_delay_alu instid0(VALU_DEP_4) | instskip(NEXT) | instid1(VALU_DEP_4)
	v_and_b32_e32 v9, 0xffff, v9
	v_lshlrev_b32_e32 v10, 16, v10
	s_delay_alu instid0(VALU_DEP_3) | instskip(NEXT) | instid1(VALU_DEP_2)
	v_or_b32_e32 v7, v8, v7
	v_or3_b32 v8, v10, v9, 0
	s_delay_alu instid0(VALU_DEP_2)
	v_or3_b32 v7, 0, 0, v7
	ds_store_b64 v14, v[7:8]
	s_and_saveexec_b32 s2, vcc_lo
	s_cbranch_execz .LBB21_4
; %bb.3:
	global_load_b128 v[7:10], v[0:1], off offset:512
	s_wait_loadcnt 0x0
	v_fma_mixlo_f16 v0, s4, v8, 0
	v_fma_mixlo_f16 v1, s4, v7, 0
	;; [unrolled: 1-line block ×4, first 2 shown]
	s_delay_alu instid0(VALU_DEP_4) | instskip(NEXT) | instid1(VALU_DEP_4)
	v_lshlrev_b32_e32 v0, 16, v0
	v_and_b32_e32 v1, 0xffff, v1
	s_delay_alu instid0(VALU_DEP_4) | instskip(NEXT) | instid1(VALU_DEP_4)
	v_and_b32_e32 v7, 0xffff, v7
	v_lshlrev_b32_e32 v8, 16, v8
	s_delay_alu instid0(VALU_DEP_3) | instskip(NEXT) | instid1(VALU_DEP_2)
	v_or_b32_e32 v0, v0, v1
	v_or3_b32 v1, v8, v7, 0
	v_add_nc_u32_e32 v7, v11, v18
	s_delay_alu instid0(VALU_DEP_3)
	v_or3_b32 v0, 0, 0, v0
	ds_store_b64 v7, v[0:1] offset:256
.LBB21_4:
	s_wait_alu 0xfffe
	s_or_b32 exec_lo, exec_lo, s2
	v_or_b32_e32 v14, 1, v4
	s_delay_alu instid0(VALU_DEP_1) | instskip(SKIP_2) | instid1(VALU_DEP_3)
	v_and_b32_e32 v7, 5, v14
	v_mul_u32_u24_e32 v15, 0x180, v14
	v_mad_u32_u24 v14, 0x180, v14, v11
	v_mad_co_u64_u32 v[0:1], null, s10, v7, 0
	s_delay_alu instid0(VALU_DEP_1) | instskip(NEXT) | instid1(VALU_DEP_1)
	v_mad_co_u64_u32 v[7:8], null, s11, v7, v[1:2]
	v_mov_b32_e32 v1, v7
	s_delay_alu instid0(VALU_DEP_1) | instskip(NEXT) | instid1(VALU_DEP_1)
	v_lshlrev_b64_e32 v[0:1], 2, v[0:1]
	v_add_co_u32 v0, s2, v5, v0
	s_wait_alu 0xf1ff
	s_delay_alu instid0(VALU_DEP_2)
	v_add_co_ci_u32_e64 v1, null, v6, v1, s2
	global_load_b128 v[7:10], v[0:1], off
	s_wait_loadcnt 0x0
	v_fma_mixlo_f16 v8, s4, v8, 0
	v_fma_mixlo_f16 v7, s4, v7, 0
	v_fma_mixlo_f16 v9, s4, v9, 0
	v_fma_mixlo_f16 v10, s4, v10, 0
	s_delay_alu instid0(VALU_DEP_4) | instskip(NEXT) | instid1(VALU_DEP_4)
	v_lshlrev_b32_e32 v8, 16, v8
	v_and_b32_e32 v7, 0xffff, v7
	s_delay_alu instid0(VALU_DEP_4) | instskip(NEXT) | instid1(VALU_DEP_4)
	v_and_b32_e32 v9, 0xffff, v9
	v_lshlrev_b32_e32 v10, 16, v10
	s_delay_alu instid0(VALU_DEP_3) | instskip(NEXT) | instid1(VALU_DEP_2)
	v_or_b32_e32 v7, v8, v7
	v_or3_b32 v9, v10, v9, 0
	s_delay_alu instid0(VALU_DEP_2)
	v_or3_b32 v8, 0, 0, v7
	v_add_nc_u32_e32 v7, v11, v15
	ds_store_b64 v14, v[8:9]
	s_and_saveexec_b32 s2, vcc_lo
	s_cbranch_execz .LBB21_6
; %bb.5:
	global_load_b128 v[19:22], v[0:1], off offset:512
	s_wait_loadcnt 0x0
	v_fma_mixlo_f16 v0, s4, v20, 0
	v_fma_mixlo_f16 v1, s4, v19, 0
	;; [unrolled: 1-line block ×4, first 2 shown]
	s_delay_alu instid0(VALU_DEP_4) | instskip(NEXT) | instid1(VALU_DEP_4)
	v_lshlrev_b32_e32 v0, 16, v0
	v_and_b32_e32 v1, 0xffff, v1
	s_delay_alu instid0(VALU_DEP_4) | instskip(NEXT) | instid1(VALU_DEP_4)
	v_and_b32_e32 v8, 0xffff, v8
	v_lshlrev_b32_e32 v9, 16, v9
	s_delay_alu instid0(VALU_DEP_3) | instskip(NEXT) | instid1(VALU_DEP_2)
	v_or_b32_e32 v0, v0, v1
	v_or3_b32 v1, v9, v8, 0
	s_delay_alu instid0(VALU_DEP_2)
	v_or3_b32 v0, 0, 0, v0
	ds_store_b64 v7, v[0:1] offset:256
.LBB21_6:
	s_wait_alu 0xfffe
	s_or_b32 exec_lo, exec_lo, s2
	v_or_b32_e32 v0, 2, v4
	s_delay_alu instid0(VALU_DEP_1) | instskip(NEXT) | instid1(VALU_DEP_1)
	v_and_b32_e32 v8, 6, v0
	v_mad_co_u64_u32 v[0:1], null, s10, v8, 0
	s_delay_alu instid0(VALU_DEP_1) | instskip(NEXT) | instid1(VALU_DEP_1)
	v_mad_co_u64_u32 v[8:9], null, s11, v8, v[1:2]
	v_mov_b32_e32 v1, v8
	s_delay_alu instid0(VALU_DEP_1) | instskip(NEXT) | instid1(VALU_DEP_1)
	v_lshlrev_b64_e32 v[0:1], 2, v[0:1]
	v_add_co_u32 v0, s2, v5, v0
	s_wait_alu 0xf1ff
	s_delay_alu instid0(VALU_DEP_2)
	v_add_co_ci_u32_e64 v1, null, v6, v1, s2
	global_load_b128 v[19:22], v[0:1], off
	s_wait_loadcnt 0x0
	v_fma_mixlo_f16 v8, s4, v20, 0
	v_fma_mixlo_f16 v9, s4, v19, 0
	v_fma_mixlo_f16 v10, s4, v21, 0
	v_fma_mixlo_f16 v14, s4, v22, 0
	s_delay_alu instid0(VALU_DEP_4) | instskip(NEXT) | instid1(VALU_DEP_4)
	v_lshlrev_b32_e32 v8, 16, v8
	v_and_b32_e32 v9, 0xffff, v9
	s_delay_alu instid0(VALU_DEP_4) | instskip(NEXT) | instid1(VALU_DEP_4)
	v_and_b32_e32 v10, 0xffff, v10
	v_lshlrev_b32_e32 v14, 16, v14
	s_delay_alu instid0(VALU_DEP_3) | instskip(NEXT) | instid1(VALU_DEP_2)
	v_or_b32_e32 v8, v8, v9
	v_or3_b32 v9, v14, v10, 0
	s_delay_alu instid0(VALU_DEP_2)
	v_or3_b32 v8, 0, 0, v8
	ds_store_b64 v7, v[8:9] offset:384
	s_and_saveexec_b32 s2, vcc_lo
	s_cbranch_execz .LBB21_8
; %bb.7:
	global_load_b128 v[19:22], v[0:1], off offset:512
	s_wait_loadcnt 0x0
	v_fma_mixlo_f16 v0, s4, v20, 0
	v_fma_mixlo_f16 v1, s4, v19, 0
	;; [unrolled: 1-line block ×4, first 2 shown]
	s_delay_alu instid0(VALU_DEP_4) | instskip(NEXT) | instid1(VALU_DEP_4)
	v_lshlrev_b32_e32 v0, 16, v0
	v_and_b32_e32 v1, 0xffff, v1
	s_delay_alu instid0(VALU_DEP_4) | instskip(NEXT) | instid1(VALU_DEP_4)
	v_and_b32_e32 v8, 0xffff, v8
	v_lshlrev_b32_e32 v9, 16, v9
	s_delay_alu instid0(VALU_DEP_3) | instskip(NEXT) | instid1(VALU_DEP_2)
	v_or_b32_e32 v0, v0, v1
	v_or3_b32 v1, v9, v8, 0
	s_delay_alu instid0(VALU_DEP_2)
	v_or3_b32 v0, 0, 0, v0
	ds_store_b64 v7, v[0:1] offset:640
.LBB21_8:
	s_wait_alu 0xfffe
	s_or_b32 exec_lo, exec_lo, s2
	v_or_b32_e32 v0, 3, v4
	s_delay_alu instid0(VALU_DEP_1) | instskip(NEXT) | instid1(VALU_DEP_1)
	v_and_b32_e32 v8, 7, v0
	v_mad_co_u64_u32 v[0:1], null, s10, v8, 0
	s_delay_alu instid0(VALU_DEP_1) | instskip(NEXT) | instid1(VALU_DEP_1)
	v_mad_co_u64_u32 v[8:9], null, s11, v8, v[1:2]
	v_mov_b32_e32 v1, v8
	s_delay_alu instid0(VALU_DEP_1) | instskip(NEXT) | instid1(VALU_DEP_1)
	v_lshlrev_b64_e32 v[0:1], 2, v[0:1]
	v_add_co_u32 v0, s2, v5, v0
	s_wait_alu 0xf1ff
	s_delay_alu instid0(VALU_DEP_2)
	v_add_co_ci_u32_e64 v1, null, v6, v1, s2
	global_load_b128 v[19:22], v[0:1], off
	s_wait_loadcnt 0x0
	v_fma_mixlo_f16 v5, s4, v20, 0
	v_fma_mixlo_f16 v6, s4, v19, 0
	;; [unrolled: 1-line block ×4, first 2 shown]
	s_delay_alu instid0(VALU_DEP_4) | instskip(NEXT) | instid1(VALU_DEP_4)
	v_lshlrev_b32_e32 v5, 16, v5
	v_and_b32_e32 v6, 0xffff, v6
	s_delay_alu instid0(VALU_DEP_4) | instskip(NEXT) | instid1(VALU_DEP_4)
	v_and_b32_e32 v8, 0xffff, v8
	v_lshlrev_b32_e32 v9, 16, v9
	s_delay_alu instid0(VALU_DEP_3) | instskip(NEXT) | instid1(VALU_DEP_2)
	v_or_b32_e32 v5, v5, v6
	v_or3_b32 v6, v9, v8, 0
	s_delay_alu instid0(VALU_DEP_2)
	v_or3_b32 v5, 0, 0, v5
	ds_store_b64 v7, v[5:6] offset:768
	s_and_saveexec_b32 s2, vcc_lo
	s_cbranch_execz .LBB21_10
; %bb.9:
	global_load_b128 v[19:22], v[0:1], off offset:512
	s_wait_loadcnt 0x0
	v_fma_mixlo_f16 v0, s4, v20, 0
	v_fma_mixlo_f16 v1, s4, v19, 0
	;; [unrolled: 1-line block ×4, first 2 shown]
	s_delay_alu instid0(VALU_DEP_4) | instskip(NEXT) | instid1(VALU_DEP_4)
	v_lshlrev_b32_e32 v0, 16, v0
	v_and_b32_e32 v1, 0xffff, v1
	s_delay_alu instid0(VALU_DEP_4) | instskip(NEXT) | instid1(VALU_DEP_4)
	v_and_b32_e32 v5, 0xffff, v5
	v_lshlrev_b32_e32 v6, 16, v6
	s_delay_alu instid0(VALU_DEP_3) | instskip(NEXT) | instid1(VALU_DEP_2)
	v_or_b32_e32 v0, v0, v1
	v_or3_b32 v1, v6, v5, 0
	s_delay_alu instid0(VALU_DEP_2)
	v_or3_b32 v0, 0, 0, v0
	ds_store_b64 v7, v[0:1] offset:1024
.LBB21_10:
	s_wait_alu 0xfffe
	s_or_b32 exec_lo, exec_lo, s2
	s_cmp_eq_u64 s[14:15], 0
	s_wait_dscnt 0x0
	s_barrier_signal -1
	s_barrier_wait -1
	global_inv scope:SCOPE_SE
	s_cbranch_scc1 .LBB21_12
; %bb.11:
	s_load_b32 s2, s[0:1], 0xd0
	s_mov_b32 s5, 0
	s_wait_kmcnt 0x0
	s_mul_i32 s2, s2, s28
	s_wait_alu 0xfffe
	s_add_co_i32 s4, s2, ttmp9
	s_wait_alu 0xfffe
	s_lshl_b64 s[4:5], s[4:5], 2
	s_wait_alu 0xfffe
	s_add_nc_u64 s[4:5], s[14:15], s[4:5]
	s_load_b32 s30, s[4:5], 0x0
.LBB21_12:
	s_and_b32 s2, ttmp7, 0xffff
	v_mbcnt_lo_u32_b32 v19, -1, 0
	s_wait_alu 0xfffe
	s_lshl_b32 s4, s2, 6
	s_wait_kmcnt 0x0
	s_wait_alu 0xfffe
	s_cmp_lt_i32 s4, s30
	s_cbranch_scc1 .LBB21_15
; %bb.13:
	v_mbcnt_lo_u32_b32 v5, -1, 0
	v_mov_b32_e32 v20, 32
	s_delay_alu instid0(VALU_DEP_2)
	v_xor_b32_e32 v55, 16, v5
	v_xor_b32_e32 v54, 8, v5
	;; [unrolled: 1-line block ×5, first 2 shown]
	v_lshlrev_b32_e32 v17, 2, v13
	s_mov_b32 s29, 0
	s_cbranch_execz .LBB21_16
; %bb.14:
	v_dual_mov_b32 v34, 0 :: v_dual_mov_b32 v3, 0xfeffffff
	v_dual_mov_b32 v48, 0 :: v_dual_mov_b32 v1, 0xfeffffff
	v_dual_mov_b32 v2, 0xfeffffff :: v_dual_mov_b32 v47, 0
	v_dual_mov_b32 v0, 0xfeffffff :: v_dual_mov_b32 v45, 0
	v_dual_mov_b32 v46, 0 :: v_dual_mov_b32 v35, 0
	v_dual_mov_b32 v36, 0 :: v_dual_mov_b32 v33, 0
	v_dual_mov_b32 v32, 0 :: v_dual_mov_b32 v31, 0
	v_dual_mov_b32 v30, 0 :: v_dual_mov_b32 v29, 0
	s_branch .LBB21_52
.LBB21_15:
                                        ; implicit-def: $vgpr5
                                        ; implicit-def: $vgpr20
                                        ; implicit-def: $vgpr55
                                        ; implicit-def: $vgpr54
                                        ; implicit-def: $vgpr53
                                        ; implicit-def: $vgpr52
                                        ; implicit-def: $vgpr51
	v_lshlrev_b32_e32 v17, 2, v13
	s_mov_b32 s29, 0
.LBB21_16:
	s_mul_f32 s5, s24, 0x4f7ffffe
	s_clause 0x1
	s_load_b128 s[24:27], s[0:1], 0x98
	s_load_b64 s[14:15], s[0:1], 0x8c
	s_sub_co_i32 s10, 0, s38
	v_lshrrev_b32_e32 v0, 3, v13
	s_cvt_u32_f32 s5, s5
	v_lshrrev_b32_e32 v5, 4, v13
	v_dual_mov_b32 v29, 0 :: v_dual_and_b32 v20, 28, v17
	s_wait_alu 0xfffe
	s_mul_i32 s10, s10, s5
	s_clause 0x1
	s_load_b32 s31, s[0:1], 0x54
	s_load_b64 s[20:21], s[0:1], 0xa8
	s_mul_hi_u32 s10, s5, s10
	s_abs_i32 s36, s33
	s_mov_b32 s11, s37
	s_wait_alu 0xfffe
	s_add_co_i32 s10, s5, s10
	v_dual_mov_b32 v42, 0xfeffffff :: v_dual_add_nc_u32 v1, v0, v4
	v_lshl_add_u32 v5, v2, 1, v5
	s_wait_alu 0xfffe
	s_mul_u64 s[10:11], s[36:37], s[10:11]
	v_dual_mov_b32 v31, 0 :: v_dual_lshlrev_b32 v4, 2, v20
	s_wait_kmcnt 0x0
	s_ashr_i32 s10, s26, 2
	s_ashr_i32 s14, s14, 2
	v_dual_mov_b32 v33, 0 :: v_dual_and_b32 v28, 60, v17
	s_wait_alu 0xfffe
	s_mul_i32 s37, s11, s38
	v_mul_lo_u32 v0, s14, v1
	v_mul_lo_u32 v9, s10, v5
	s_ashr_i32 s40, s33, 31
	s_ashr_i32 s5, s39, 31
	s_sub_co_i32 s26, s36, s37
	s_ashr_i32 s3, s3, 1
	s_wait_alu 0xfffe
	s_xor_b32 s5, s40, s5
	s_add_co_i32 s39, s11, 1
	s_sub_co_i32 s36, s26, s38
	v_mad_u32_u24 v4, 0x90, v1, v4
	v_dual_mov_b32 v35, 0 :: v_dual_lshlrev_b32 v6, 2, v28
	s_cmp_ge_u32 s26, s38
	v_lshl_add_u32 v7, s14, 5, v0
	s_cselect_b32 s11, s39, s11
	s_cselect_b32 s26, s36, s26
	s_wait_alu 0xfffe
	s_add_co_i32 s36, s11, 1
	v_add_nc_u32_e32 v21, 0x3000, v4
	v_dual_mov_b32 v39, 0 :: v_dual_add_nc_u32 v22, 0x4200, v4
	v_lshl_or_b32 v6, v5, 8, v6
	v_mad_co_u64_u32 v[4:5], null, v3, s3, v[13:14]
	v_lshl_add_u32 v14, s10, 4, v9
	s_cmp_ge_u32 s26, s38
	v_ashrrev_i32_e32 v1, 31, v0
	s_cselect_b32 s11, s36, s11
	v_ashrrev_i32_e32 v8, 31, v7
	s_wait_alu 0xfffe
	s_xor_b32 s11, s11, s5
	v_ashrrev_i32_e32 v10, 31, v9
	v_ashrrev_i32_e32 v15, 31, v14
	s_mul_u64 s[24:25], s[24:25], s[28:29]
	s_mul_u64 s[20:21], s[20:21], s[28:29]
	s_wait_alu 0xfffe
	s_sub_co_i32 s5, s11, s5
	s_add_nc_u64 s[6:7], s[6:7], s[24:25]
	s_wait_alu 0xfffe
	s_mul_i32 s24, s5, s15
	s_add_nc_u64 s[8:9], s[8:9], s[20:21]
	s_mul_i32 s20, s5, s27
	s_movk_i32 s5, 0x3000
	v_dual_mov_b32 v30, 0 :: v_dual_add_nc_u32 v25, 0x3000, v6
	v_dual_mov_b32 v37, 0 :: v_dual_add_nc_u32 v26, 0x4000, v6
	v_lshlrev_b64_e32 v[5:6], 2, v[0:1]
	v_lshlrev_b64_e32 v[7:8], 2, v[7:8]
	;; [unrolled: 1-line block ×4, first 2 shown]
	s_wait_alu 0xfffe
	v_mad_u32_u24 v23, 0x90, v13, s5
	v_lshl_add_u32 v24, v2, 9, 0x5400
	v_dual_mov_b32 v32, 0 :: v_dual_lshlrev_b32 v27, 2, v20
	v_mov_b32_e32 v20, 32
	v_dual_mov_b32 v43, 0xfeffffff :: v_dual_lshlrev_b32 v28, 2, v28
	v_dual_mov_b32 v36, 0 :: v_dual_mov_b32 v41, 0xfeffffff
	v_mov_b32_e32 v34, 0
	v_mov_b32_e32 v44, 0xfeffffff
	;; [unrolled: 1-line block ×4, first 2 shown]
	s_ashr_i32 s25, s24, 31
	s_ashr_i32 s21, s20, 31
	s_wait_alu 0xfffe
	s_add_nc_u64 s[6:7], s[6:7], s[24:25]
	s_add_nc_u64 s[8:9], s[8:9], s[20:21]
	s_ashr_i32 s15, s14, 31
	s_ashr_i32 s11, s10, 31
	s_add_nc_u64 s[20:21], s[0:1], 0xd0
	s_mov_b32 s3, 0xbbbac73d
.LBB21_17:                              ; =>This Inner Loop Header: Depth=1
	s_ashr_i32 s5, s4, 31
	s_wait_alu 0xfffe
	s_mul_u64 s[24:25], s[4:5], s[14:15]
	s_wait_alu 0xfffe
	s_lshl_b64 s[24:25], s[24:25], 2
	s_wait_alu 0xfffe
	s_add_nc_u64 s[24:25], s[6:7], s[24:25]
	s_wait_alu 0xfffe
	v_add_co_u32 v0, vcc_lo, s24, v5
	s_wait_alu 0xfffd
	v_add_co_ci_u32_e64 v1, null, s25, v6, vcc_lo
	v_add_co_u32 v2, vcc_lo, s24, v7
	s_wait_alu 0xfffd
	v_add_co_ci_u32_e64 v3, null, s25, v8, vcc_lo
	v_add_co_u32 v0, vcc_lo, v0, v27
	s_wait_alu 0xfffd
	v_add_co_ci_u32_e64 v1, null, 0, v1, vcc_lo
	v_add_co_u32 v2, vcc_lo, v2, v27
	s_wait_alu 0xfffd
	v_add_co_ci_u32_e64 v3, null, 0, v3, vcc_lo
	s_clause 0x1
	global_load_b128 v[45:48], v[0:1], off
	global_load_b128 v[49:52], v[2:3], off
	s_wait_loadcnt 0x1
	ds_store_b128 v21, v[45:48]
	s_wait_loadcnt 0x0
	ds_store_b128 v22, v[49:52]
	s_wait_dscnt 0x0
	s_barrier_signal -1
	s_barrier_wait -1
	global_inv scope:SCOPE_SE
	ds_load_b128 v[53:56], v23
	ds_load_b128 v[57:60], v18
	ds_load_b128 v[61:64], v18 offset:384
	ds_load_b128 v[65:68], v18 offset:768
	v_dual_mov_b32 v51, 0 :: v_dual_mov_b32 v52, 0
	ds_load_b128 v[69:72], v18 offset:1152
	ds_load_b128 v[73:76], v23 offset:4608
	v_dual_mov_b32 v49, 0 :: v_dual_mov_b32 v50, 0
	v_dual_mov_b32 v47, 0 :: v_dual_mov_b32 v48, 0
	s_wait_dscnt 0x4
	;;#ASMSTART
	v_dot2_f32_f16 v51, v53, v57, v51
	;;#ASMEND
	;;#ASMSTART
	v_dot2_f32_f16 v51, v54, v58, v51
	;;#ASMEND
	;; [unrolled: 3-line block ×4, first 2 shown]
	s_wait_dscnt 0x3
	;;#ASMSTART
	v_dot2_f32_f16 v49, v53, v61, v49
	;;#ASMEND
	;;#ASMSTART
	v_dot2_f32_f16 v49, v54, v62, v49
	;;#ASMEND
	;; [unrolled: 3-line block ×4, first 2 shown]
	s_wait_dscnt 0x2
	;;#ASMSTART
	v_dot2_f32_f16 v47, v53, v65, v47
	;;#ASMEND
	;;#ASMSTART
	v_dot2_f32_f16 v47, v54, v66, v47
	;;#ASMEND
	v_dual_mov_b32 v45, 0 :: v_dual_mov_b32 v46, 0
	;;#ASMSTART
	v_dot2_f32_f16 v47, v55, v67, v47
	;;#ASMEND
	;;#ASMSTART
	v_dot2_f32_f16 v47, v56, v68, v47
	;;#ASMEND
	s_wait_dscnt 0x1
	;;#ASMSTART
	v_dot2_f32_f16 v45, v53, v69, v45
	;;#ASMEND
	;;#ASMSTART
	v_dot2_f32_f16 v45, v54, v70, v45
	;;#ASMEND
	;; [unrolled: 3-line block ×4, first 2 shown]
	s_wait_dscnt 0x0
	;;#ASMSTART
	v_dot2_f32_f16 v52, v73, v57, v52
	;;#ASMEND
	;;#ASMSTART
	v_dot2_f32_f16 v52, v74, v58, v52
	;;#ASMEND
	;; [unrolled: 3-line block ×16, first 2 shown]
	ds_load_b128 v[53:56], v23 offset:16
	ds_load_b128 v[57:60], v18 offset:16
	;; [unrolled: 1-line block ×6, first 2 shown]
	s_wait_dscnt 0x4
	;;#ASMSTART
	v_dot2_f32_f16 v51, v53, v57, v51
	;;#ASMEND
	;;#ASMSTART
	v_dot2_f32_f16 v51, v54, v58, v51
	;;#ASMEND
	;;#ASMSTART
	v_dot2_f32_f16 v51, v55, v59, v51
	;;#ASMEND
	;;#ASMSTART
	v_dot2_f32_f16 v51, v56, v60, v51
	;;#ASMEND
	s_wait_dscnt 0x3
	;;#ASMSTART
	v_dot2_f32_f16 v49, v53, v61, v49
	;;#ASMEND
	;;#ASMSTART
	v_dot2_f32_f16 v49, v54, v62, v49
	;;#ASMEND
	;;#ASMSTART
	v_dot2_f32_f16 v49, v55, v63, v49
	;;#ASMEND
	;;#ASMSTART
	v_dot2_f32_f16 v49, v56, v64, v49
	;;#ASMEND
	s_wait_dscnt 0x2
	;;#ASMSTART
	v_dot2_f32_f16 v47, v53, v65, v47
	;;#ASMEND
	;;#ASMSTART
	v_dot2_f32_f16 v47, v54, v66, v47
	;;#ASMEND
	;;#ASMSTART
	v_dot2_f32_f16 v47, v55, v67, v47
	;;#ASMEND
	;;#ASMSTART
	v_dot2_f32_f16 v47, v56, v68, v47
	;;#ASMEND
	s_wait_dscnt 0x1
	;;#ASMSTART
	v_dot2_f32_f16 v45, v53, v69, v45
	;;#ASMEND
	;;#ASMSTART
	v_dot2_f32_f16 v45, v54, v70, v45
	;;#ASMEND
	;;#ASMSTART
	v_dot2_f32_f16 v45, v55, v71, v45
	;;#ASMEND
	;;#ASMSTART
	v_dot2_f32_f16 v45, v56, v72, v45
	;;#ASMEND
	s_wait_dscnt 0x0
	;;#ASMSTART
	v_dot2_f32_f16 v52, v73, v57, v52
	;;#ASMEND
	;;#ASMSTART
	v_dot2_f32_f16 v52, v74, v58, v52
	;;#ASMEND
	;;#ASMSTART
	v_dot2_f32_f16 v52, v75, v59, v52
	;;#ASMEND
	;;#ASMSTART
	v_dot2_f32_f16 v52, v76, v60, v52
	;;#ASMEND
	;;#ASMSTART
	v_dot2_f32_f16 v50, v73, v61, v50
	;;#ASMEND
	;;#ASMSTART
	v_dot2_f32_f16 v50, v74, v62, v50
	;;#ASMEND
	;; [unrolled: 3-line block ×12, first 2 shown]
	ds_load_b128 v[53:56], v23 offset:32
	ds_load_b128 v[57:60], v18 offset:32
	;; [unrolled: 1-line block ×6, first 2 shown]
	s_wait_dscnt 0x4
	;;#ASMSTART
	v_dot2_f32_f16 v51, v53, v57, v51
	;;#ASMEND
	;;#ASMSTART
	v_dot2_f32_f16 v51, v54, v58, v51
	;;#ASMEND
	;;#ASMSTART
	v_dot2_f32_f16 v51, v55, v59, v51
	;;#ASMEND
	;;#ASMSTART
	v_dot2_f32_f16 v51, v56, v60, v51
	;;#ASMEND
	s_wait_dscnt 0x3
	;;#ASMSTART
	v_dot2_f32_f16 v49, v53, v61, v49
	;;#ASMEND
	;;#ASMSTART
	v_dot2_f32_f16 v49, v54, v62, v49
	;;#ASMEND
	;;#ASMSTART
	v_dot2_f32_f16 v49, v55, v63, v49
	;;#ASMEND
	;;#ASMSTART
	v_dot2_f32_f16 v49, v56, v64, v49
	;;#ASMEND
	;; [unrolled: 13-line block ×5, first 2 shown]
	;;#ASMSTART
	v_dot2_f32_f16 v50, v73, v61, v50
	;;#ASMEND
	;;#ASMSTART
	v_dot2_f32_f16 v50, v74, v62, v50
	;;#ASMEND
	;; [unrolled: 3-line block ×12, first 2 shown]
	ds_load_b128 v[53:56], v23 offset:48
	ds_load_b128 v[57:60], v18 offset:48
	;; [unrolled: 1-line block ×6, first 2 shown]
	s_wait_dscnt 0x4
	;;#ASMSTART
	v_dot2_f32_f16 v51, v53, v57, v51
	;;#ASMEND
	;;#ASMSTART
	v_dot2_f32_f16 v51, v54, v58, v51
	;;#ASMEND
	;;#ASMSTART
	v_dot2_f32_f16 v51, v55, v59, v51
	;;#ASMEND
	;;#ASMSTART
	v_dot2_f32_f16 v51, v56, v60, v51
	;;#ASMEND
	s_wait_dscnt 0x3
	;;#ASMSTART
	v_dot2_f32_f16 v49, v53, v61, v49
	;;#ASMEND
	;;#ASMSTART
	v_dot2_f32_f16 v49, v54, v62, v49
	;;#ASMEND
	;;#ASMSTART
	v_dot2_f32_f16 v49, v55, v63, v49
	;;#ASMEND
	;;#ASMSTART
	v_dot2_f32_f16 v49, v56, v64, v49
	;;#ASMEND
	;; [unrolled: 13-line block ×5, first 2 shown]
	;;#ASMSTART
	v_dot2_f32_f16 v50, v73, v61, v50
	;;#ASMEND
	;;#ASMSTART
	v_dot2_f32_f16 v50, v74, v62, v50
	;;#ASMEND
	;; [unrolled: 3-line block ×12, first 2 shown]
	ds_load_b128 v[53:56], v23 offset:64
	ds_load_b128 v[57:60], v18 offset:64
	;; [unrolled: 1-line block ×6, first 2 shown]
	s_wait_dscnt 0x4
	;;#ASMSTART
	v_dot2_f32_f16 v51, v53, v57, v51
	;;#ASMEND
	;;#ASMSTART
	v_dot2_f32_f16 v51, v54, v58, v51
	;;#ASMEND
	;;#ASMSTART
	v_dot2_f32_f16 v51, v55, v59, v51
	;;#ASMEND
	;;#ASMSTART
	v_dot2_f32_f16 v51, v56, v60, v51
	;;#ASMEND
	s_wait_dscnt 0x3
	;;#ASMSTART
	v_dot2_f32_f16 v49, v53, v61, v49
	;;#ASMEND
	;;#ASMSTART
	v_dot2_f32_f16 v49, v54, v62, v49
	;;#ASMEND
	;;#ASMSTART
	v_dot2_f32_f16 v49, v55, v63, v49
	;;#ASMEND
	;;#ASMSTART
	v_dot2_f32_f16 v49, v56, v64, v49
	;;#ASMEND
	;; [unrolled: 13-line block ×5, first 2 shown]
	;;#ASMSTART
	v_dot2_f32_f16 v50, v73, v61, v50
	;;#ASMEND
	;;#ASMSTART
	v_dot2_f32_f16 v50, v74, v62, v50
	;;#ASMEND
	;; [unrolled: 3-line block ×12, first 2 shown]
	ds_load_b128 v[53:56], v23 offset:80
	ds_load_b128 v[57:60], v18 offset:80
	;; [unrolled: 1-line block ×6, first 2 shown]
	s_wait_dscnt 0x4
	;;#ASMSTART
	v_dot2_f32_f16 v51, v53, v57, v51
	;;#ASMEND
	;;#ASMSTART
	v_dot2_f32_f16 v51, v54, v58, v51
	;;#ASMEND
	;;#ASMSTART
	v_dot2_f32_f16 v51, v55, v59, v51
	;;#ASMEND
	;;#ASMSTART
	v_dot2_f32_f16 v51, v56, v60, v51
	;;#ASMEND
	s_wait_dscnt 0x3
	;;#ASMSTART
	v_dot2_f32_f16 v49, v53, v61, v49
	;;#ASMEND
	;;#ASMSTART
	v_dot2_f32_f16 v49, v54, v62, v49
	;;#ASMEND
	;;#ASMSTART
	v_dot2_f32_f16 v49, v55, v63, v49
	;;#ASMEND
	;;#ASMSTART
	v_dot2_f32_f16 v49, v56, v64, v49
	;;#ASMEND
	;; [unrolled: 13-line block ×5, first 2 shown]
	;;#ASMSTART
	v_dot2_f32_f16 v50, v73, v61, v50
	;;#ASMEND
	;;#ASMSTART
	v_dot2_f32_f16 v50, v74, v62, v50
	;;#ASMEND
	;; [unrolled: 3-line block ×12, first 2 shown]
	ds_load_b128 v[53:56], v23 offset:96
	ds_load_b128 v[57:60], v18 offset:96
	;; [unrolled: 1-line block ×6, first 2 shown]
	s_wait_dscnt 0x4
	;;#ASMSTART
	v_dot2_f32_f16 v51, v53, v57, v51
	;;#ASMEND
	;;#ASMSTART
	v_dot2_f32_f16 v51, v54, v58, v51
	;;#ASMEND
	;;#ASMSTART
	v_dot2_f32_f16 v51, v55, v59, v51
	;;#ASMEND
	;;#ASMSTART
	v_dot2_f32_f16 v51, v56, v60, v51
	;;#ASMEND
	s_wait_dscnt 0x3
	;;#ASMSTART
	v_dot2_f32_f16 v49, v53, v61, v49
	;;#ASMEND
	;;#ASMSTART
	v_dot2_f32_f16 v49, v54, v62, v49
	;;#ASMEND
	;;#ASMSTART
	v_dot2_f32_f16 v49, v55, v63, v49
	;;#ASMEND
	;;#ASMSTART
	v_dot2_f32_f16 v49, v56, v64, v49
	;;#ASMEND
	;; [unrolled: 13-line block ×5, first 2 shown]
	;;#ASMSTART
	v_dot2_f32_f16 v50, v73, v61, v50
	;;#ASMEND
	;;#ASMSTART
	v_dot2_f32_f16 v50, v74, v62, v50
	;;#ASMEND
	;;#ASMSTART
	v_dot2_f32_f16 v50, v75, v63, v50
	;;#ASMEND
	;;#ASMSTART
	v_dot2_f32_f16 v50, v76, v64, v50
	;;#ASMEND
	;;#ASMSTART
	v_dot2_f32_f16 v48, v73, v65, v48
	;;#ASMEND
	;;#ASMSTART
	v_dot2_f32_f16 v48, v74, v66, v48
	;;#ASMEND
	;;#ASMSTART
	v_dot2_f32_f16 v48, v75, v67, v48
	;;#ASMEND
	;;#ASMSTART
	v_dot2_f32_f16 v48, v76, v68, v48
	;;#ASMEND
	;;#ASMSTART
	v_dot2_f32_f16 v46, v73, v69, v46
	;;#ASMEND
	;;#ASMSTART
	v_dot2_f32_f16 v46, v74, v70, v46
	;;#ASMEND
	;;#ASMSTART
	v_dot2_f32_f16 v46, v75, v71, v46
	;;#ASMEND
	;;#ASMSTART
	v_dot2_f32_f16 v46, v76, v72, v46
	;;#ASMEND
	ds_load_b128 v[53:56], v23 offset:112
	ds_load_b128 v[57:60], v18 offset:112
	;; [unrolled: 1-line block ×6, first 2 shown]
	s_wait_dscnt 0x4
	;;#ASMSTART
	v_dot2_f32_f16 v51, v53, v57, v51
	;;#ASMEND
	;;#ASMSTART
	v_dot2_f32_f16 v51, v54, v58, v51
	;;#ASMEND
	;;#ASMSTART
	v_dot2_f32_f16 v51, v55, v59, v51
	;;#ASMEND
	;;#ASMSTART
	v_dot2_f32_f16 v51, v56, v60, v51
	;;#ASMEND
	s_wait_dscnt 0x3
	;;#ASMSTART
	v_dot2_f32_f16 v49, v53, v61, v49
	;;#ASMEND
	;;#ASMSTART
	v_dot2_f32_f16 v49, v54, v62, v49
	;;#ASMEND
	;;#ASMSTART
	v_dot2_f32_f16 v49, v55, v63, v49
	;;#ASMEND
	;;#ASMSTART
	v_dot2_f32_f16 v49, v56, v64, v49
	;;#ASMEND
	;; [unrolled: 13-line block ×5, first 2 shown]
	;;#ASMSTART
	v_dot2_f32_f16 v50, v73, v61, v50
	;;#ASMEND
	;;#ASMSTART
	v_dot2_f32_f16 v50, v74, v62, v50
	;;#ASMEND
	;; [unrolled: 3-line block ×12, first 2 shown]
	s_wait_loadcnt 0x0
	s_barrier_signal -1
	s_barrier_wait -1
	global_inv scope:SCOPE_SE
	s_clause 0x1
	global_load_b128 v[53:56], v[0:1], off offset:128
	global_load_b128 v[57:60], v[2:3], off offset:128
	s_wait_loadcnt 0x1
	ds_store_b128 v21, v[53:56]
	s_wait_loadcnt 0x0
	ds_store_b128 v22, v[57:60]
	s_wait_dscnt 0x0
	s_barrier_signal -1
	s_barrier_wait -1
	global_inv scope:SCOPE_SE
	ds_load_b128 v[53:56], v23
	ds_load_b128 v[57:60], v18 offset:128
	ds_load_b128 v[61:64], v18 offset:512
	;; [unrolled: 1-line block ×5, first 2 shown]
	s_wait_dscnt 0x4
	;;#ASMSTART
	v_dot2_f32_f16 v51, v53, v57, v51
	;;#ASMEND
	;;#ASMSTART
	v_dot2_f32_f16 v51, v54, v58, v51
	;;#ASMEND
	;;#ASMSTART
	v_dot2_f32_f16 v51, v55, v59, v51
	;;#ASMEND
	;;#ASMSTART
	v_dot2_f32_f16 v51, v56, v60, v51
	;;#ASMEND
	s_wait_dscnt 0x3
	;;#ASMSTART
	v_dot2_f32_f16 v49, v53, v61, v49
	;;#ASMEND
	;;#ASMSTART
	v_dot2_f32_f16 v49, v54, v62, v49
	;;#ASMEND
	;;#ASMSTART
	v_dot2_f32_f16 v49, v55, v63, v49
	;;#ASMEND
	;;#ASMSTART
	v_dot2_f32_f16 v49, v56, v64, v49
	;;#ASMEND
	;; [unrolled: 13-line block ×5, first 2 shown]
	;;#ASMSTART
	v_dot2_f32_f16 v50, v73, v61, v50
	;;#ASMEND
	;;#ASMSTART
	v_dot2_f32_f16 v50, v74, v62, v50
	;;#ASMEND
	;; [unrolled: 3-line block ×12, first 2 shown]
	ds_load_b128 v[53:56], v23 offset:16
	ds_load_b128 v[57:60], v18 offset:144
	;; [unrolled: 1-line block ×6, first 2 shown]
	s_wait_dscnt 0x4
	;;#ASMSTART
	v_dot2_f32_f16 v51, v53, v57, v51
	;;#ASMEND
	;;#ASMSTART
	v_dot2_f32_f16 v51, v54, v58, v51
	;;#ASMEND
	;;#ASMSTART
	v_dot2_f32_f16 v51, v55, v59, v51
	;;#ASMEND
	;;#ASMSTART
	v_dot2_f32_f16 v51, v56, v60, v51
	;;#ASMEND
	s_wait_dscnt 0x3
	;;#ASMSTART
	v_dot2_f32_f16 v49, v53, v61, v49
	;;#ASMEND
	;;#ASMSTART
	v_dot2_f32_f16 v49, v54, v62, v49
	;;#ASMEND
	;;#ASMSTART
	v_dot2_f32_f16 v49, v55, v63, v49
	;;#ASMEND
	;;#ASMSTART
	v_dot2_f32_f16 v49, v56, v64, v49
	;;#ASMEND
	;; [unrolled: 13-line block ×5, first 2 shown]
	;;#ASMSTART
	v_dot2_f32_f16 v50, v73, v61, v50
	;;#ASMEND
	;;#ASMSTART
	v_dot2_f32_f16 v50, v74, v62, v50
	;;#ASMEND
	;; [unrolled: 3-line block ×12, first 2 shown]
	ds_load_b128 v[53:56], v23 offset:32
	ds_load_b128 v[57:60], v18 offset:160
	;; [unrolled: 1-line block ×6, first 2 shown]
	s_wait_dscnt 0x4
	;;#ASMSTART
	v_dot2_f32_f16 v51, v53, v57, v51
	;;#ASMEND
	;;#ASMSTART
	v_dot2_f32_f16 v51, v54, v58, v51
	;;#ASMEND
	;;#ASMSTART
	v_dot2_f32_f16 v51, v55, v59, v51
	;;#ASMEND
	;;#ASMSTART
	v_dot2_f32_f16 v51, v56, v60, v51
	;;#ASMEND
	s_wait_dscnt 0x3
	;;#ASMSTART
	v_dot2_f32_f16 v49, v53, v61, v49
	;;#ASMEND
	;;#ASMSTART
	v_dot2_f32_f16 v49, v54, v62, v49
	;;#ASMEND
	;;#ASMSTART
	v_dot2_f32_f16 v49, v55, v63, v49
	;;#ASMEND
	;;#ASMSTART
	v_dot2_f32_f16 v49, v56, v64, v49
	;;#ASMEND
	;; [unrolled: 13-line block ×5, first 2 shown]
	;;#ASMSTART
	v_dot2_f32_f16 v50, v73, v61, v50
	;;#ASMEND
	;;#ASMSTART
	v_dot2_f32_f16 v50, v74, v62, v50
	;;#ASMEND
	;; [unrolled: 3-line block ×12, first 2 shown]
	ds_load_b128 v[53:56], v23 offset:48
	ds_load_b128 v[57:60], v18 offset:176
	;; [unrolled: 1-line block ×6, first 2 shown]
	s_wait_dscnt 0x4
	;;#ASMSTART
	v_dot2_f32_f16 v51, v53, v57, v51
	;;#ASMEND
	;;#ASMSTART
	v_dot2_f32_f16 v51, v54, v58, v51
	;;#ASMEND
	;;#ASMSTART
	v_dot2_f32_f16 v51, v55, v59, v51
	;;#ASMEND
	;;#ASMSTART
	v_dot2_f32_f16 v51, v56, v60, v51
	;;#ASMEND
	s_wait_dscnt 0x3
	;;#ASMSTART
	v_dot2_f32_f16 v49, v53, v61, v49
	;;#ASMEND
	;;#ASMSTART
	v_dot2_f32_f16 v49, v54, v62, v49
	;;#ASMEND
	;;#ASMSTART
	v_dot2_f32_f16 v49, v55, v63, v49
	;;#ASMEND
	;;#ASMSTART
	v_dot2_f32_f16 v49, v56, v64, v49
	;;#ASMEND
	;; [unrolled: 13-line block ×5, first 2 shown]
	;;#ASMSTART
	v_dot2_f32_f16 v50, v73, v61, v50
	;;#ASMEND
	;;#ASMSTART
	v_dot2_f32_f16 v50, v74, v62, v50
	;;#ASMEND
	;; [unrolled: 3-line block ×12, first 2 shown]
	ds_load_b128 v[53:56], v23 offset:64
	ds_load_b128 v[57:60], v18 offset:192
	;; [unrolled: 1-line block ×6, first 2 shown]
	s_wait_dscnt 0x4
	;;#ASMSTART
	v_dot2_f32_f16 v51, v53, v57, v51
	;;#ASMEND
	;;#ASMSTART
	v_dot2_f32_f16 v51, v54, v58, v51
	;;#ASMEND
	;;#ASMSTART
	v_dot2_f32_f16 v51, v55, v59, v51
	;;#ASMEND
	;;#ASMSTART
	v_dot2_f32_f16 v51, v56, v60, v51
	;;#ASMEND
	s_wait_dscnt 0x3
	;;#ASMSTART
	v_dot2_f32_f16 v49, v53, v61, v49
	;;#ASMEND
	;;#ASMSTART
	v_dot2_f32_f16 v49, v54, v62, v49
	;;#ASMEND
	;;#ASMSTART
	v_dot2_f32_f16 v49, v55, v63, v49
	;;#ASMEND
	;;#ASMSTART
	v_dot2_f32_f16 v49, v56, v64, v49
	;;#ASMEND
	;; [unrolled: 13-line block ×5, first 2 shown]
	;;#ASMSTART
	v_dot2_f32_f16 v50, v73, v61, v50
	;;#ASMEND
	;;#ASMSTART
	v_dot2_f32_f16 v50, v74, v62, v50
	;;#ASMEND
	;; [unrolled: 3-line block ×12, first 2 shown]
	ds_load_b128 v[53:56], v23 offset:80
	ds_load_b128 v[57:60], v18 offset:208
	;; [unrolled: 1-line block ×6, first 2 shown]
	s_wait_dscnt 0x4
	;;#ASMSTART
	v_dot2_f32_f16 v51, v53, v57, v51
	;;#ASMEND
	;;#ASMSTART
	v_dot2_f32_f16 v51, v54, v58, v51
	;;#ASMEND
	;;#ASMSTART
	v_dot2_f32_f16 v51, v55, v59, v51
	;;#ASMEND
	;;#ASMSTART
	v_dot2_f32_f16 v51, v56, v60, v51
	;;#ASMEND
	s_wait_dscnt 0x3
	;;#ASMSTART
	v_dot2_f32_f16 v49, v53, v61, v49
	;;#ASMEND
	;;#ASMSTART
	v_dot2_f32_f16 v49, v54, v62, v49
	;;#ASMEND
	;;#ASMSTART
	v_dot2_f32_f16 v49, v55, v63, v49
	;;#ASMEND
	;;#ASMSTART
	v_dot2_f32_f16 v49, v56, v64, v49
	;;#ASMEND
	;; [unrolled: 13-line block ×5, first 2 shown]
	;;#ASMSTART
	v_dot2_f32_f16 v50, v73, v61, v50
	;;#ASMEND
	;;#ASMSTART
	v_dot2_f32_f16 v50, v74, v62, v50
	;;#ASMEND
	;; [unrolled: 3-line block ×12, first 2 shown]
	ds_load_b128 v[53:56], v23 offset:96
	ds_load_b128 v[57:60], v18 offset:224
	;; [unrolled: 1-line block ×6, first 2 shown]
	s_wait_dscnt 0x4
	;;#ASMSTART
	v_dot2_f32_f16 v51, v53, v57, v51
	;;#ASMEND
	;;#ASMSTART
	v_dot2_f32_f16 v51, v54, v58, v51
	;;#ASMEND
	;;#ASMSTART
	v_dot2_f32_f16 v51, v55, v59, v51
	;;#ASMEND
	;;#ASMSTART
	v_dot2_f32_f16 v51, v56, v60, v51
	;;#ASMEND
	s_wait_dscnt 0x3
	;;#ASMSTART
	v_dot2_f32_f16 v49, v53, v61, v49
	;;#ASMEND
	;;#ASMSTART
	v_dot2_f32_f16 v49, v54, v62, v49
	;;#ASMEND
	;;#ASMSTART
	v_dot2_f32_f16 v49, v55, v63, v49
	;;#ASMEND
	;;#ASMSTART
	v_dot2_f32_f16 v49, v56, v64, v49
	;;#ASMEND
	;; [unrolled: 13-line block ×5, first 2 shown]
	;;#ASMSTART
	v_dot2_f32_f16 v50, v73, v61, v50
	;;#ASMEND
	;;#ASMSTART
	v_dot2_f32_f16 v50, v74, v62, v50
	;;#ASMEND
	;;#ASMSTART
	v_dot2_f32_f16 v50, v75, v63, v50
	;;#ASMEND
	;;#ASMSTART
	v_dot2_f32_f16 v50, v76, v64, v50
	;;#ASMEND
	;;#ASMSTART
	v_dot2_f32_f16 v48, v73, v65, v48
	;;#ASMEND
	;;#ASMSTART
	v_dot2_f32_f16 v48, v74, v66, v48
	;;#ASMEND
	;;#ASMSTART
	v_dot2_f32_f16 v48, v75, v67, v48
	;;#ASMEND
	;;#ASMSTART
	v_dot2_f32_f16 v48, v76, v68, v48
	;;#ASMEND
	;;#ASMSTART
	v_dot2_f32_f16 v46, v73, v69, v46
	;;#ASMEND
	;;#ASMSTART
	v_dot2_f32_f16 v46, v74, v70, v46
	;;#ASMEND
	;;#ASMSTART
	v_dot2_f32_f16 v46, v75, v71, v46
	;;#ASMEND
	;;#ASMSTART
	v_dot2_f32_f16 v46, v76, v72, v46
	;;#ASMEND
	ds_load_b128 v[53:56], v23 offset:112
	ds_load_b128 v[57:60], v18 offset:240
	;; [unrolled: 1-line block ×6, first 2 shown]
	s_wait_dscnt 0x4
	;;#ASMSTART
	v_dot2_f32_f16 v51, v53, v57, v51
	;;#ASMEND
	;;#ASMSTART
	v_dot2_f32_f16 v51, v54, v58, v51
	;;#ASMEND
	;;#ASMSTART
	v_dot2_f32_f16 v51, v55, v59, v51
	;;#ASMEND
	;;#ASMSTART
	v_dot2_f32_f16 v51, v56, v60, v51
	;;#ASMEND
	s_wait_dscnt 0x3
	;;#ASMSTART
	v_dot2_f32_f16 v49, v53, v61, v49
	;;#ASMEND
	;;#ASMSTART
	v_dot2_f32_f16 v49, v54, v62, v49
	;;#ASMEND
	;;#ASMSTART
	v_dot2_f32_f16 v49, v55, v63, v49
	;;#ASMEND
	;;#ASMSTART
	v_dot2_f32_f16 v49, v56, v64, v49
	;;#ASMEND
	;; [unrolled: 13-line block ×5, first 2 shown]
	;;#ASMSTART
	v_dot2_f32_f16 v50, v73, v61, v50
	;;#ASMEND
	;;#ASMSTART
	v_dot2_f32_f16 v50, v74, v62, v50
	;;#ASMEND
	;; [unrolled: 3-line block ×12, first 2 shown]
	s_wait_loadcnt 0x0
	s_barrier_signal -1
	s_barrier_wait -1
	global_inv scope:SCOPE_SE
	s_clause 0x1
	global_load_b128 v[53:56], v[0:1], off offset:256
	global_load_b128 v[0:3], v[2:3], off offset:256
	s_wait_loadcnt 0x1
	ds_store_b128 v21, v[53:56]
	s_wait_loadcnt 0x0
	ds_store_b128 v22, v[0:3]
	s_wait_dscnt 0x0
	s_barrier_signal -1
	s_barrier_wait -1
	global_inv scope:SCOPE_SE
	ds_load_b128 v[0:3], v23
	ds_load_b128 v[53:56], v18 offset:256
	ds_load_b128 v[57:60], v18 offset:640
	;; [unrolled: 1-line block ×5, first 2 shown]
	s_wait_dscnt 0x4
	;;#ASMSTART
	v_dot2_f32_f16 v51, v0, v53, v51
	;;#ASMEND
	;;#ASMSTART
	v_dot2_f32_f16 v51, v1, v54, v51
	;;#ASMEND
	;;#ASMSTART
	v_dot2_f32_f16 v51, v2, v55, v51
	;;#ASMEND
	;;#ASMSTART
	v_dot2_f32_f16 v51, v3, v56, v51
	;;#ASMEND
	s_wait_dscnt 0x3
	;;#ASMSTART
	v_dot2_f32_f16 v49, v0, v57, v49
	;;#ASMEND
	;;#ASMSTART
	v_dot2_f32_f16 v49, v1, v58, v49
	;;#ASMEND
	;;#ASMSTART
	v_dot2_f32_f16 v49, v2, v59, v49
	;;#ASMEND
	;;#ASMSTART
	v_dot2_f32_f16 v49, v3, v60, v49
	;;#ASMEND
	;; [unrolled: 13-line block ×5, first 2 shown]
	;;#ASMSTART
	v_dot2_f32_f16 v50, v69, v57, v50
	;;#ASMEND
	;;#ASMSTART
	v_dot2_f32_f16 v50, v70, v58, v50
	;;#ASMEND
	;; [unrolled: 3-line block ×12, first 2 shown]
	ds_load_b128 v[0:3], v23 offset:16
	ds_load_b128 v[53:56], v18 offset:272
	;; [unrolled: 1-line block ×6, first 2 shown]
	s_wait_dscnt 0x4
	;;#ASMSTART
	v_dot2_f32_f16 v51, v0, v53, v51
	;;#ASMEND
	;;#ASMSTART
	v_dot2_f32_f16 v51, v1, v54, v51
	;;#ASMEND
	;;#ASMSTART
	v_dot2_f32_f16 v51, v2, v55, v51
	;;#ASMEND
	;;#ASMSTART
	v_dot2_f32_f16 v51, v3, v56, v51
	;;#ASMEND
	s_wait_dscnt 0x3
	;;#ASMSTART
	v_dot2_f32_f16 v49, v0, v57, v49
	;;#ASMEND
	;;#ASMSTART
	v_dot2_f32_f16 v49, v1, v58, v49
	;;#ASMEND
	;;#ASMSTART
	v_dot2_f32_f16 v49, v2, v59, v49
	;;#ASMEND
	;;#ASMSTART
	v_dot2_f32_f16 v49, v3, v60, v49
	;;#ASMEND
	s_wait_dscnt 0x2
	;;#ASMSTART
	v_dot2_f32_f16 v47, v0, v61, v47
	;;#ASMEND
	;;#ASMSTART
	v_dot2_f32_f16 v47, v1, v62, v47
	;;#ASMEND
	;;#ASMSTART
	v_dot2_f32_f16 v47, v2, v63, v47
	;;#ASMEND
	;;#ASMSTART
	v_dot2_f32_f16 v47, v3, v64, v47
	;;#ASMEND
	s_wait_dscnt 0x1
	;;#ASMSTART
	v_dot2_f32_f16 v45, v0, v65, v45
	;;#ASMEND
	;;#ASMSTART
	v_dot2_f32_f16 v45, v1, v66, v45
	;;#ASMEND
	;;#ASMSTART
	v_dot2_f32_f16 v45, v2, v67, v45
	;;#ASMEND
	;;#ASMSTART
	v_dot2_f32_f16 v45, v3, v68, v45
	;;#ASMEND
	s_wait_dscnt 0x0
	;;#ASMSTART
	v_dot2_f32_f16 v52, v69, v53, v52
	;;#ASMEND
	;;#ASMSTART
	v_dot2_f32_f16 v52, v70, v54, v52
	;;#ASMEND
	;;#ASMSTART
	v_dot2_f32_f16 v52, v71, v55, v52
	;;#ASMEND
	;;#ASMSTART
	v_dot2_f32_f16 v52, v72, v56, v52
	;;#ASMEND
	;;#ASMSTART
	v_dot2_f32_f16 v50, v69, v57, v50
	;;#ASMEND
	;;#ASMSTART
	v_dot2_f32_f16 v50, v70, v58, v50
	;;#ASMEND
	;; [unrolled: 3-line block ×12, first 2 shown]
	ds_load_b128 v[0:3], v23 offset:32
	ds_load_b128 v[53:56], v18 offset:288
	;; [unrolled: 1-line block ×6, first 2 shown]
	s_wait_dscnt 0x4
	;;#ASMSTART
	v_dot2_f32_f16 v51, v0, v53, v51
	;;#ASMEND
	;;#ASMSTART
	v_dot2_f32_f16 v51, v1, v54, v51
	;;#ASMEND
	;;#ASMSTART
	v_dot2_f32_f16 v51, v2, v55, v51
	;;#ASMEND
	;;#ASMSTART
	v_dot2_f32_f16 v51, v3, v56, v51
	;;#ASMEND
	s_wait_dscnt 0x3
	;;#ASMSTART
	v_dot2_f32_f16 v49, v0, v57, v49
	;;#ASMEND
	;;#ASMSTART
	v_dot2_f32_f16 v49, v1, v58, v49
	;;#ASMEND
	;;#ASMSTART
	v_dot2_f32_f16 v49, v2, v59, v49
	;;#ASMEND
	;;#ASMSTART
	v_dot2_f32_f16 v49, v3, v60, v49
	;;#ASMEND
	;; [unrolled: 13-line block ×5, first 2 shown]
	;;#ASMSTART
	v_dot2_f32_f16 v50, v69, v57, v50
	;;#ASMEND
	;;#ASMSTART
	v_dot2_f32_f16 v50, v70, v58, v50
	;;#ASMEND
	;; [unrolled: 3-line block ×12, first 2 shown]
	ds_load_b128 v[0:3], v23 offset:48
	ds_load_b128 v[53:56], v18 offset:304
	;; [unrolled: 1-line block ×6, first 2 shown]
	s_wait_dscnt 0x4
	;;#ASMSTART
	v_dot2_f32_f16 v51, v0, v53, v51
	;;#ASMEND
	;;#ASMSTART
	v_dot2_f32_f16 v51, v1, v54, v51
	;;#ASMEND
	;;#ASMSTART
	v_dot2_f32_f16 v51, v2, v55, v51
	;;#ASMEND
	;;#ASMSTART
	v_dot2_f32_f16 v51, v3, v56, v51
	;;#ASMEND
	s_wait_dscnt 0x3
	;;#ASMSTART
	v_dot2_f32_f16 v49, v0, v57, v49
	;;#ASMEND
	;;#ASMSTART
	v_dot2_f32_f16 v49, v1, v58, v49
	;;#ASMEND
	;;#ASMSTART
	v_dot2_f32_f16 v49, v2, v59, v49
	;;#ASMEND
	;;#ASMSTART
	v_dot2_f32_f16 v49, v3, v60, v49
	;;#ASMEND
	s_wait_dscnt 0x2
	;;#ASMSTART
	v_dot2_f32_f16 v47, v0, v61, v47
	;;#ASMEND
	;;#ASMSTART
	v_dot2_f32_f16 v47, v1, v62, v47
	;;#ASMEND
	;;#ASMSTART
	v_dot2_f32_f16 v47, v2, v63, v47
	;;#ASMEND
	;;#ASMSTART
	v_dot2_f32_f16 v47, v3, v64, v47
	;;#ASMEND
	s_wait_dscnt 0x1
	;;#ASMSTART
	v_dot2_f32_f16 v45, v0, v65, v45
	;;#ASMEND
	;;#ASMSTART
	v_dot2_f32_f16 v45, v1, v66, v45
	;;#ASMEND
	;;#ASMSTART
	v_dot2_f32_f16 v45, v2, v67, v45
	;;#ASMEND
	;;#ASMSTART
	v_dot2_f32_f16 v45, v3, v68, v45
	;;#ASMEND
	s_wait_dscnt 0x0
	;;#ASMSTART
	v_dot2_f32_f16 v52, v69, v53, v52
	;;#ASMEND
	;;#ASMSTART
	v_dot2_f32_f16 v52, v70, v54, v52
	;;#ASMEND
	;;#ASMSTART
	v_dot2_f32_f16 v52, v71, v55, v52
	;;#ASMEND
	;;#ASMSTART
	v_dot2_f32_f16 v52, v72, v56, v52
	;;#ASMEND
	;;#ASMSTART
	v_dot2_f32_f16 v50, v69, v57, v50
	;;#ASMEND
	;;#ASMSTART
	v_dot2_f32_f16 v50, v70, v58, v50
	;;#ASMEND
	;;#ASMSTART
	v_dot2_f32_f16 v50, v71, v59, v50
	;;#ASMEND
	;;#ASMSTART
	v_dot2_f32_f16 v50, v72, v60, v50
	;;#ASMEND
	;;#ASMSTART
	v_dot2_f32_f16 v48, v69, v61, v48
	;;#ASMEND
	;;#ASMSTART
	v_dot2_f32_f16 v48, v70, v62, v48
	;;#ASMEND
	;;#ASMSTART
	v_dot2_f32_f16 v48, v71, v63, v48
	;;#ASMEND
	;;#ASMSTART
	v_dot2_f32_f16 v48, v72, v64, v48
	;;#ASMEND
	;;#ASMSTART
	v_dot2_f32_f16 v46, v69, v65, v46
	;;#ASMEND
	;;#ASMSTART
	v_dot2_f32_f16 v46, v70, v66, v46
	;;#ASMEND
	;;#ASMSTART
	v_dot2_f32_f16 v46, v71, v67, v46
	;;#ASMEND
	;;#ASMSTART
	v_dot2_f32_f16 v46, v72, v68, v46
	;;#ASMEND
	ds_load_b128 v[0:3], v23 offset:64
	ds_load_b128 v[53:56], v18 offset:320
	;; [unrolled: 1-line block ×6, first 2 shown]
	s_wait_dscnt 0x4
	;;#ASMSTART
	v_dot2_f32_f16 v51, v0, v53, v51
	;;#ASMEND
	;;#ASMSTART
	v_dot2_f32_f16 v51, v1, v54, v51
	;;#ASMEND
	;;#ASMSTART
	v_dot2_f32_f16 v51, v2, v55, v51
	;;#ASMEND
	;;#ASMSTART
	v_dot2_f32_f16 v51, v3, v56, v51
	;;#ASMEND
	s_wait_dscnt 0x3
	;;#ASMSTART
	v_dot2_f32_f16 v49, v0, v57, v49
	;;#ASMEND
	;;#ASMSTART
	v_dot2_f32_f16 v49, v1, v58, v49
	;;#ASMEND
	;;#ASMSTART
	v_dot2_f32_f16 v49, v2, v59, v49
	;;#ASMEND
	;;#ASMSTART
	v_dot2_f32_f16 v49, v3, v60, v49
	;;#ASMEND
	;; [unrolled: 13-line block ×5, first 2 shown]
	;;#ASMSTART
	v_dot2_f32_f16 v50, v69, v57, v50
	;;#ASMEND
	;;#ASMSTART
	v_dot2_f32_f16 v50, v70, v58, v50
	;;#ASMEND
	;; [unrolled: 3-line block ×12, first 2 shown]
	ds_load_b128 v[0:3], v23 offset:80
	ds_load_b128 v[53:56], v18 offset:336
	;; [unrolled: 1-line block ×6, first 2 shown]
	s_wait_dscnt 0x4
	;;#ASMSTART
	v_dot2_f32_f16 v51, v0, v53, v51
	;;#ASMEND
	;;#ASMSTART
	v_dot2_f32_f16 v51, v1, v54, v51
	;;#ASMEND
	;;#ASMSTART
	v_dot2_f32_f16 v51, v2, v55, v51
	;;#ASMEND
	;;#ASMSTART
	v_dot2_f32_f16 v51, v3, v56, v51
	;;#ASMEND
	s_wait_dscnt 0x3
	;;#ASMSTART
	v_dot2_f32_f16 v49, v0, v57, v49
	;;#ASMEND
	;;#ASMSTART
	v_dot2_f32_f16 v49, v1, v58, v49
	;;#ASMEND
	;;#ASMSTART
	v_dot2_f32_f16 v49, v2, v59, v49
	;;#ASMEND
	;;#ASMSTART
	v_dot2_f32_f16 v49, v3, v60, v49
	;;#ASMEND
	;; [unrolled: 13-line block ×5, first 2 shown]
	;;#ASMSTART
	v_dot2_f32_f16 v50, v69, v57, v50
	;;#ASMEND
	;;#ASMSTART
	v_dot2_f32_f16 v50, v70, v58, v50
	;;#ASMEND
	;; [unrolled: 3-line block ×12, first 2 shown]
	ds_load_b128 v[0:3], v23 offset:96
	ds_load_b128 v[53:56], v18 offset:352
	;; [unrolled: 1-line block ×6, first 2 shown]
	s_wait_dscnt 0x4
	;;#ASMSTART
	v_dot2_f32_f16 v51, v0, v53, v51
	;;#ASMEND
	;;#ASMSTART
	v_dot2_f32_f16 v51, v1, v54, v51
	;;#ASMEND
	;;#ASMSTART
	v_dot2_f32_f16 v51, v2, v55, v51
	;;#ASMEND
	;;#ASMSTART
	v_dot2_f32_f16 v51, v3, v56, v51
	;;#ASMEND
	s_wait_dscnt 0x3
	;;#ASMSTART
	v_dot2_f32_f16 v49, v0, v57, v49
	;;#ASMEND
	;;#ASMSTART
	v_dot2_f32_f16 v49, v1, v58, v49
	;;#ASMEND
	;;#ASMSTART
	v_dot2_f32_f16 v49, v2, v59, v49
	;;#ASMEND
	;;#ASMSTART
	v_dot2_f32_f16 v49, v3, v60, v49
	;;#ASMEND
	;; [unrolled: 13-line block ×5, first 2 shown]
	;;#ASMSTART
	v_dot2_f32_f16 v50, v69, v57, v50
	;;#ASMEND
	;;#ASMSTART
	v_dot2_f32_f16 v50, v70, v58, v50
	;;#ASMEND
	;; [unrolled: 3-line block ×12, first 2 shown]
	ds_load_b128 v[0:3], v23 offset:112
	ds_load_b128 v[53:56], v18 offset:368
	;; [unrolled: 1-line block ×6, first 2 shown]
	s_wait_dscnt 0x4
	;;#ASMSTART
	v_dot2_f32_f16 v51, v0, v53, v51
	;;#ASMEND
	;;#ASMSTART
	v_dot2_f32_f16 v51, v1, v54, v51
	;;#ASMEND
	;;#ASMSTART
	v_dot2_f32_f16 v51, v2, v55, v51
	;;#ASMEND
	;;#ASMSTART
	v_dot2_f32_f16 v51, v3, v56, v51
	;;#ASMEND
	s_wait_dscnt 0x3
	;;#ASMSTART
	v_dot2_f32_f16 v49, v0, v57, v49
	;;#ASMEND
	;;#ASMSTART
	v_dot2_f32_f16 v49, v1, v58, v49
	;;#ASMEND
	;;#ASMSTART
	v_dot2_f32_f16 v49, v2, v59, v49
	;;#ASMEND
	;;#ASMSTART
	v_dot2_f32_f16 v49, v3, v60, v49
	;;#ASMEND
	;; [unrolled: 13-line block ×5, first 2 shown]
	;;#ASMSTART
	v_dot2_f32_f16 v50, v69, v57, v50
	;;#ASMEND
	;;#ASMSTART
	v_dot2_f32_f16 v50, v70, v58, v50
	;;#ASMEND
	;; [unrolled: 3-line block ×5, first 2 shown]
	v_cmp_ngt_f32_e64 s24, 0x3f200000, |v51|
	;;#ASMSTART
	v_dot2_f32_f16 v48, v70, v62, v48
	;;#ASMEND
	;;#ASMSTART
	v_dot2_f32_f16 v48, v71, v63, v48
	;;#ASMEND
	;; [unrolled: 3-line block ×7, first 2 shown]
                                        ; implicit-def: $vgpr2
	s_and_saveexec_b32 s25, s24
	s_wait_alu 0xfffe
	s_xor_b32 s24, exec_lo, s25
	s_cbranch_execz .LBB21_19
; %bb.18:                               ;   in Loop: Header=BB21_17 Depth=1
	v_add_f32_e64 v0, |v51|, |v51|
	s_delay_alu instid0(VALU_DEP_1) | instskip(SKIP_1) | instid1(VALU_DEP_2)
	v_mul_f32_e32 v1, 0x3fb8aa3b, v0
	v_cmp_ngt_f32_e32 vcc_lo, 0xc2ce8ed0, v0
	v_rndne_f32_e32 v2, v1
	v_fma_f32 v3, 0x3fb8aa3b, v0, -v1
	s_delay_alu instid0(VALU_DEP_2) | instskip(NEXT) | instid1(VALU_DEP_2)
	v_sub_f32_e32 v1, v1, v2
	v_fmac_f32_e32 v3, 0x32a5705f, v0
	v_cvt_i32_f32_e32 v2, v2
	s_delay_alu instid0(VALU_DEP_2) | instskip(NEXT) | instid1(VALU_DEP_1)
	v_add_f32_e32 v1, v1, v3
	v_exp_f32_e32 v1, v1
	s_delay_alu instid0(TRANS32_DEP_1) | instskip(SKIP_1) | instid1(VALU_DEP_1)
	v_ldexp_f32 v1, v1, v2
	s_wait_alu 0xfffd
	v_cndmask_b32_e32 v1, 0, v1, vcc_lo
	v_cmp_nlt_f32_e32 vcc_lo, 0x42b17218, v0
	s_wait_alu 0xfffd
	s_delay_alu instid0(VALU_DEP_2) | instskip(NEXT) | instid1(VALU_DEP_1)
	v_cndmask_b32_e32 v0, 0x7f800000, v1, vcc_lo
	v_add_f32_e32 v0, 1.0, v0
	s_delay_alu instid0(VALU_DEP_1) | instskip(NEXT) | instid1(TRANS32_DEP_1)
	v_rcp_f32_e32 v0, v0
	v_fma_f32 v2, v0, -2.0, 1.0
.LBB21_19:                              ;   in Loop: Header=BB21_17 Depth=1
	s_wait_alu 0xfffe
	s_and_not1_saveexec_b32 s24, s24
	s_cbranch_execz .LBB21_21
; %bb.20:                               ;   in Loop: Header=BB21_17 Depth=1
	v_mul_f32_e32 v0, v51, v51
	s_delay_alu instid0(VALU_DEP_1) | instskip(NEXT) | instid1(VALU_DEP_1)
	v_fmaak_f32 v1, s3, v0, 0x3ca908c9
	v_fmaak_f32 v1, v0, v1, 0xbd5c1c4e
	s_delay_alu instid0(VALU_DEP_1) | instskip(NEXT) | instid1(VALU_DEP_1)
	v_fmaak_f32 v1, v0, v1, 0x3e088382
	v_fmaak_f32 v1, v0, v1, 0xbeaaaa99
	s_delay_alu instid0(VALU_DEP_1) | instskip(NEXT) | instid1(VALU_DEP_1)
	v_mul_f32_e64 v1, |v51|, v1
	v_fma_f32 v2, v0, v1, |v51|
.LBB21_21:                              ;   in Loop: Header=BB21_17 Depth=1
	s_wait_alu 0xfffe
	s_or_b32 exec_lo, exec_lo, s24
	v_add_nc_u32_e32 v0, s4, v4
	v_cmp_ngt_f32_e64 s24, 0x3f200000, |v52|
                                        ; implicit-def: $vgpr3
	s_delay_alu instid0(VALU_DEP_2) | instskip(NEXT) | instid1(VALU_DEP_1)
	v_ashrrev_i32_e32 v1, 31, v0
	v_lshlrev_b64_e32 v[0:1], 1, v[0:1]
	s_delay_alu instid0(VALU_DEP_1) | instskip(SKIP_1) | instid1(VALU_DEP_2)
	v_add_co_u32 v0, vcc_lo, s34, v0
	s_wait_alu 0xfffd
	v_add_co_ci_u32_e64 v1, null, s35, v1, vcc_lo
	global_load_u16 v58, v[0:1], off
	s_and_saveexec_b32 s25, s24
	s_wait_alu 0xfffe
	s_xor_b32 s24, exec_lo, s25
	s_cbranch_execz .LBB21_23
; %bb.22:                               ;   in Loop: Header=BB21_17 Depth=1
	v_add_f32_e64 v3, |v52|, |v52|
	s_delay_alu instid0(VALU_DEP_1) | instskip(SKIP_1) | instid1(VALU_DEP_2)
	v_mul_f32_e32 v53, 0x3fb8aa3b, v3
	v_cmp_ngt_f32_e32 vcc_lo, 0xc2ce8ed0, v3
	v_rndne_f32_e32 v54, v53
	v_fma_f32 v55, 0x3fb8aa3b, v3, -v53
	s_delay_alu instid0(VALU_DEP_2) | instskip(NEXT) | instid1(VALU_DEP_2)
	v_sub_f32_e32 v53, v53, v54
	v_fmac_f32_e32 v55, 0x32a5705f, v3
	v_cvt_i32_f32_e32 v54, v54
	s_delay_alu instid0(VALU_DEP_2) | instskip(NEXT) | instid1(VALU_DEP_1)
	v_add_f32_e32 v53, v53, v55
	v_exp_f32_e32 v53, v53
	s_delay_alu instid0(TRANS32_DEP_1) | instskip(SKIP_1) | instid1(VALU_DEP_1)
	v_ldexp_f32 v53, v53, v54
	s_wait_alu 0xfffd
	v_cndmask_b32_e32 v53, 0, v53, vcc_lo
	v_cmp_nlt_f32_e32 vcc_lo, 0x42b17218, v3
	s_wait_alu 0xfffd
	s_delay_alu instid0(VALU_DEP_2) | instskip(NEXT) | instid1(VALU_DEP_1)
	v_cndmask_b32_e32 v3, 0x7f800000, v53, vcc_lo
	v_add_f32_e32 v3, 1.0, v3
	s_delay_alu instid0(VALU_DEP_1) | instskip(NEXT) | instid1(TRANS32_DEP_1)
	v_rcp_f32_e32 v3, v3
	v_fma_f32 v3, v3, -2.0, 1.0
.LBB21_23:                              ;   in Loop: Header=BB21_17 Depth=1
	s_wait_alu 0xfffe
	s_and_not1_saveexec_b32 s24, s24
	s_cbranch_execz .LBB21_25
; %bb.24:                               ;   in Loop: Header=BB21_17 Depth=1
	v_mul_f32_e32 v3, v52, v52
	s_delay_alu instid0(VALU_DEP_1) | instskip(NEXT) | instid1(VALU_DEP_1)
	v_fmaak_f32 v53, s3, v3, 0x3ca908c9
	v_fmaak_f32 v53, v3, v53, 0xbd5c1c4e
	s_delay_alu instid0(VALU_DEP_1) | instskip(NEXT) | instid1(VALU_DEP_1)
	v_fmaak_f32 v53, v3, v53, 0x3e088382
	v_fmaak_f32 v53, v3, v53, 0xbeaaaa99
	s_delay_alu instid0(VALU_DEP_1) | instskip(NEXT) | instid1(VALU_DEP_1)
	v_mul_f32_e64 v53, |v52|, v53
	v_fma_f32 v3, v3, v53, |v52|
.LBB21_25:                              ;   in Loop: Header=BB21_17 Depth=1
	s_wait_alu 0xfffe
	s_or_b32 exec_lo, exec_lo, s24
	global_load_u16 v63, v[0:1], off offset:64
	v_bfi_b32 v0, 0x7fffffff, v2, v51
	v_xor_b32_e32 v55, 16, v19
	v_bfi_b32 v1, 0x7fffffff, v3, v52
	v_xor_b32_e32 v54, 8, v19
	v_xor_b32_e32 v53, 4, v19
	s_wait_loadcnt 0x1
	v_fma_mix_f32 v61, s31, v0, v58 op_sel_hi:[0,0,1]
	v_cmp_gt_i32_e32 vcc_lo, 32, v55
	v_xor_b32_e32 v52, 2, v19
	v_xor_b32_e32 v51, 1, v19
	v_cmp_ngt_f32_e64 s24, 0x3f200000, |v49|
                                        ; implicit-def: $vgpr64
	s_wait_alu 0xfffd
	v_cndmask_b32_e32 v0, v19, v55, vcc_lo
	v_cmp_gt_i32_e32 vcc_lo, 32, v54
	s_wait_alu 0xfffd
	s_delay_alu instid0(VALU_DEP_2) | instskip(SKIP_1) | instid1(VALU_DEP_2)
	v_dual_cndmask_b32 v3, v19, v54 :: v_dual_lshlrev_b32 v0, 2, v0
	v_cmp_gt_i32_e32 vcc_lo, 32, v53
	v_lshlrev_b32_e32 v59, 2, v3
	s_wait_alu 0xfffd
	v_cndmask_b32_e32 v3, v19, v53, vcc_lo
	v_cmp_gt_i32_e32 vcc_lo, 32, v52
	s_delay_alu instid0(VALU_DEP_2) | instskip(SKIP_3) | instid1(VALU_DEP_2)
	v_lshlrev_b32_e32 v57, 2, v3
	s_wait_alu 0xfffd
	v_cndmask_b32_e32 v3, v19, v52, vcc_lo
	v_cmp_gt_i32_e32 vcc_lo, 32, v51
	v_lshlrev_b32_e32 v56, 2, v3
	s_wait_alu 0xfffd
	v_cndmask_b32_e32 v3, v19, v51, vcc_lo
	s_delay_alu instid0(VALU_DEP_1) | instskip(SKIP_2) | instid1(VALU_DEP_1)
	v_lshlrev_b32_e32 v3, 2, v3
	s_wait_loadcnt 0x0
	v_fma_mix_f32 v62, s31, v1, v63 op_sel_hi:[0,0,1]
	v_dual_add_f32 v1, 0x40051340, v61 :: v_dual_add_f32 v2, 0x40051340, v62
	s_delay_alu instid0(VALU_DEP_1) | instskip(SKIP_3) | instid1(VALU_DEP_1)
	v_max3_num_f32 v1, v42, v1, v2
	ds_bpermute_b32 v2, v0, v1
	s_wait_dscnt 0x0
	v_max_num_f32_e32 v2, v2, v2
	v_max_num_f32_e32 v1, v1, v2
	ds_bpermute_b32 v2, v59, v1
	s_wait_dscnt 0x0
	v_max_num_f32_e32 v2, v2, v2
	s_delay_alu instid0(VALU_DEP_1) | instskip(SKIP_3) | instid1(VALU_DEP_1)
	v_max_num_f32_e32 v1, v1, v2
	ds_bpermute_b32 v2, v57, v1
	s_wait_dscnt 0x0
	v_max_num_f32_e32 v2, v2, v2
	v_max_num_f32_e32 v1, v1, v2
	ds_bpermute_b32 v2, v56, v1
	s_wait_dscnt 0x0
	v_max_num_f32_e32 v2, v2, v2
	s_delay_alu instid0(VALU_DEP_1)
	v_max_num_f32_e32 v1, v1, v2
	ds_bpermute_b32 v2, v3, v1
	s_and_saveexec_b32 s25, s24
	s_wait_alu 0xfffe
	s_xor_b32 s24, exec_lo, s25
	s_cbranch_execz .LBB21_27
; %bb.26:                               ;   in Loop: Header=BB21_17 Depth=1
	v_add_f32_e64 v60, |v49|, |v49|
	s_delay_alu instid0(VALU_DEP_1) | instskip(SKIP_1) | instid1(VALU_DEP_2)
	v_mul_f32_e32 v64, 0x3fb8aa3b, v60
	v_cmp_ngt_f32_e32 vcc_lo, 0xc2ce8ed0, v60
	v_rndne_f32_e32 v65, v64
	v_fma_f32 v66, 0x3fb8aa3b, v60, -v64
	s_delay_alu instid0(VALU_DEP_2) | instskip(NEXT) | instid1(VALU_DEP_2)
	v_sub_f32_e32 v64, v64, v65
	v_fmac_f32_e32 v66, 0x32a5705f, v60
	v_cvt_i32_f32_e32 v65, v65
	s_delay_alu instid0(VALU_DEP_2) | instskip(NEXT) | instid1(VALU_DEP_1)
	v_add_f32_e32 v64, v64, v66
	v_exp_f32_e32 v64, v64
	s_delay_alu instid0(TRANS32_DEP_1) | instskip(SKIP_1) | instid1(VALU_DEP_1)
	v_ldexp_f32 v64, v64, v65
	s_wait_alu 0xfffd
	v_cndmask_b32_e32 v64, 0, v64, vcc_lo
	v_cmp_nlt_f32_e32 vcc_lo, 0x42b17218, v60
	s_wait_alu 0xfffd
	s_delay_alu instid0(VALU_DEP_2) | instskip(NEXT) | instid1(VALU_DEP_1)
	v_cndmask_b32_e32 v60, 0x7f800000, v64, vcc_lo
	v_add_f32_e32 v60, 1.0, v60
	s_delay_alu instid0(VALU_DEP_1) | instskip(NEXT) | instid1(TRANS32_DEP_1)
	v_rcp_f32_e32 v60, v60
	v_fma_f32 v64, v60, -2.0, 1.0
.LBB21_27:                              ;   in Loop: Header=BB21_17 Depth=1
	s_wait_alu 0xfffe
	s_and_not1_saveexec_b32 s24, s24
	s_cbranch_execz .LBB21_29
; %bb.28:                               ;   in Loop: Header=BB21_17 Depth=1
	v_mul_f32_e32 v60, v49, v49
	s_delay_alu instid0(VALU_DEP_1) | instskip(NEXT) | instid1(VALU_DEP_1)
	v_fmaak_f32 v64, s3, v60, 0x3ca908c9
	v_fmaak_f32 v64, v60, v64, 0xbd5c1c4e
	s_delay_alu instid0(VALU_DEP_1) | instskip(NEXT) | instid1(VALU_DEP_1)
	v_fmaak_f32 v64, v60, v64, 0x3e088382
	v_fmaak_f32 v64, v60, v64, 0xbeaaaa99
	s_delay_alu instid0(VALU_DEP_1) | instskip(NEXT) | instid1(VALU_DEP_1)
	v_mul_f32_e64 v64, |v49|, v64
	v_fma_f32 v64, v60, v64, |v49|
.LBB21_29:                              ;   in Loop: Header=BB21_17 Depth=1
	s_wait_alu 0xfffe
	s_or_b32 exec_lo, exec_lo, s24
	v_cmp_ngt_f32_e64 s24, 0x3f200000, |v50|
                                        ; implicit-def: $vgpr65
	s_and_saveexec_b32 s25, s24
	s_wait_alu 0xfffe
	s_xor_b32 s24, exec_lo, s25
	s_cbranch_execz .LBB21_31
; %bb.30:                               ;   in Loop: Header=BB21_17 Depth=1
	v_add_f32_e64 v60, |v50|, |v50|
	s_delay_alu instid0(VALU_DEP_1) | instskip(SKIP_1) | instid1(VALU_DEP_2)
	v_mul_f32_e32 v65, 0x3fb8aa3b, v60
	v_cmp_ngt_f32_e32 vcc_lo, 0xc2ce8ed0, v60
	v_rndne_f32_e32 v66, v65
	v_fma_f32 v67, 0x3fb8aa3b, v60, -v65
	s_delay_alu instid0(VALU_DEP_2) | instskip(NEXT) | instid1(VALU_DEP_2)
	v_sub_f32_e32 v65, v65, v66
	v_fmac_f32_e32 v67, 0x32a5705f, v60
	v_cvt_i32_f32_e32 v66, v66
	s_delay_alu instid0(VALU_DEP_2) | instskip(NEXT) | instid1(VALU_DEP_1)
	v_add_f32_e32 v65, v65, v67
	v_exp_f32_e32 v65, v65
	s_delay_alu instid0(TRANS32_DEP_1) | instskip(SKIP_1) | instid1(VALU_DEP_1)
	v_ldexp_f32 v65, v65, v66
	s_wait_alu 0xfffd
	v_cndmask_b32_e32 v65, 0, v65, vcc_lo
	v_cmp_nlt_f32_e32 vcc_lo, 0x42b17218, v60
	s_wait_alu 0xfffd
	s_delay_alu instid0(VALU_DEP_2) | instskip(NEXT) | instid1(VALU_DEP_1)
	v_cndmask_b32_e32 v60, 0x7f800000, v65, vcc_lo
	v_add_f32_e32 v60, 1.0, v60
	s_delay_alu instid0(VALU_DEP_1) | instskip(NEXT) | instid1(TRANS32_DEP_1)
	v_rcp_f32_e32 v60, v60
	v_fma_f32 v65, v60, -2.0, 1.0
.LBB21_31:                              ;   in Loop: Header=BB21_17 Depth=1
	s_wait_alu 0xfffe
	s_and_not1_saveexec_b32 s24, s24
	s_cbranch_execz .LBB21_33
; %bb.32:                               ;   in Loop: Header=BB21_17 Depth=1
	v_mul_f32_e32 v60, v50, v50
	s_delay_alu instid0(VALU_DEP_1) | instskip(NEXT) | instid1(VALU_DEP_1)
	v_fmaak_f32 v65, s3, v60, 0x3ca908c9
	v_fmaak_f32 v65, v60, v65, 0xbd5c1c4e
	s_delay_alu instid0(VALU_DEP_1) | instskip(NEXT) | instid1(VALU_DEP_1)
	v_fmaak_f32 v65, v60, v65, 0x3e088382
	v_fmaak_f32 v65, v60, v65, 0xbeaaaa99
	s_delay_alu instid0(VALU_DEP_1) | instskip(NEXT) | instid1(VALU_DEP_1)
	v_mul_f32_e64 v65, |v50|, v65
	v_fma_f32 v65, v60, v65, |v50|
.LBB21_33:                              ;   in Loop: Header=BB21_17 Depth=1
	s_wait_alu 0xfffe
	s_or_b32 exec_lo, exec_lo, s24
	v_cvt_f32_f16_e32 v60, v58
	v_cvt_f32_f16_e32 v58, v63
	v_bfi_b32 v49, 0x7fffffff, v64, v49
	v_bfi_b32 v50, 0x7fffffff, v65, v50
	v_cmp_ngt_f32_e64 s24, 0x3f200000, |v47|
                                        ; implicit-def: $vgpr65
	s_delay_alu instid0(VALU_DEP_3) | instskip(NEXT) | instid1(VALU_DEP_3)
	v_fma_f32 v63, s31, v49, v60
	v_fma_f32 v64, s31, v50, v58
	s_delay_alu instid0(VALU_DEP_1) | instskip(NEXT) | instid1(VALU_DEP_1)
	v_dual_add_f32 v49, 0x40051340, v63 :: v_dual_add_f32 v50, 0x40051340, v64
	v_max3_num_f32 v49, v44, v49, v50
	ds_bpermute_b32 v50, v0, v49
	s_wait_dscnt 0x0
	v_max_num_f32_e32 v50, v50, v50
	s_delay_alu instid0(VALU_DEP_1) | instskip(SKIP_3) | instid1(VALU_DEP_1)
	v_max_num_f32_e32 v49, v49, v50
	ds_bpermute_b32 v50, v59, v49
	s_wait_dscnt 0x0
	v_max_num_f32_e32 v50, v50, v50
	v_max_num_f32_e32 v49, v49, v50
	ds_bpermute_b32 v50, v57, v49
	s_wait_dscnt 0x0
	v_max_num_f32_e32 v50, v50, v50
	s_delay_alu instid0(VALU_DEP_1) | instskip(SKIP_3) | instid1(VALU_DEP_1)
	v_max_num_f32_e32 v49, v49, v50
	ds_bpermute_b32 v50, v56, v49
	s_wait_dscnt 0x0
	v_max_num_f32_e32 v50, v50, v50
	v_max_num_f32_e32 v49, v49, v50
	ds_bpermute_b32 v50, v3, v49
	s_and_saveexec_b32 s25, s24
	s_wait_alu 0xfffe
	s_xor_b32 s24, exec_lo, s25
	s_cbranch_execz .LBB21_35
; %bb.34:                               ;   in Loop: Header=BB21_17 Depth=1
	v_add_f32_e64 v65, |v47|, |v47|
	s_delay_alu instid0(VALU_DEP_1) | instskip(SKIP_1) | instid1(VALU_DEP_2)
	v_mul_f32_e32 v66, 0x3fb8aa3b, v65
	v_cmp_ngt_f32_e32 vcc_lo, 0xc2ce8ed0, v65
	v_rndne_f32_e32 v67, v66
	v_fma_f32 v68, 0x3fb8aa3b, v65, -v66
	s_delay_alu instid0(VALU_DEP_2) | instskip(NEXT) | instid1(VALU_DEP_2)
	v_sub_f32_e32 v66, v66, v67
	v_fmac_f32_e32 v68, 0x32a5705f, v65
	v_cvt_i32_f32_e32 v67, v67
	s_delay_alu instid0(VALU_DEP_2) | instskip(NEXT) | instid1(VALU_DEP_1)
	v_add_f32_e32 v66, v66, v68
	v_exp_f32_e32 v66, v66
	s_delay_alu instid0(TRANS32_DEP_1) | instskip(SKIP_1) | instid1(VALU_DEP_1)
	v_ldexp_f32 v66, v66, v67
	s_wait_alu 0xfffd
	v_cndmask_b32_e32 v66, 0, v66, vcc_lo
	v_cmp_nlt_f32_e32 vcc_lo, 0x42b17218, v65
	s_wait_alu 0xfffd
	s_delay_alu instid0(VALU_DEP_2) | instskip(NEXT) | instid1(VALU_DEP_1)
	v_cndmask_b32_e32 v65, 0x7f800000, v66, vcc_lo
	v_add_f32_e32 v65, 1.0, v65
	s_delay_alu instid0(VALU_DEP_1) | instskip(NEXT) | instid1(TRANS32_DEP_1)
	v_rcp_f32_e32 v65, v65
	v_fma_f32 v65, v65, -2.0, 1.0
.LBB21_35:                              ;   in Loop: Header=BB21_17 Depth=1
	s_wait_alu 0xfffe
	s_and_not1_saveexec_b32 s24, s24
	s_cbranch_execz .LBB21_37
; %bb.36:                               ;   in Loop: Header=BB21_17 Depth=1
	v_mul_f32_e32 v65, v47, v47
	s_delay_alu instid0(VALU_DEP_1) | instskip(NEXT) | instid1(VALU_DEP_1)
	v_fmaak_f32 v66, s3, v65, 0x3ca908c9
	v_fmaak_f32 v66, v65, v66, 0xbd5c1c4e
	s_delay_alu instid0(VALU_DEP_1) | instskip(NEXT) | instid1(VALU_DEP_1)
	v_fmaak_f32 v66, v65, v66, 0x3e088382
	v_fmaak_f32 v66, v65, v66, 0xbeaaaa99
	s_delay_alu instid0(VALU_DEP_1) | instskip(NEXT) | instid1(VALU_DEP_1)
	v_mul_f32_e64 v66, |v47|, v66
	v_fma_f32 v65, v65, v66, |v47|
.LBB21_37:                              ;   in Loop: Header=BB21_17 Depth=1
	s_wait_alu 0xfffe
	s_or_b32 exec_lo, exec_lo, s24
	v_cmp_ngt_f32_e64 s24, 0x3f200000, |v48|
                                        ; implicit-def: $vgpr66
	s_and_saveexec_b32 s25, s24
	s_wait_alu 0xfffe
	s_xor_b32 s24, exec_lo, s25
	s_cbranch_execz .LBB21_39
; %bb.38:                               ;   in Loop: Header=BB21_17 Depth=1
	v_add_f32_e64 v66, |v48|, |v48|
	s_delay_alu instid0(VALU_DEP_1) | instskip(SKIP_1) | instid1(VALU_DEP_2)
	v_mul_f32_e32 v67, 0x3fb8aa3b, v66
	v_cmp_ngt_f32_e32 vcc_lo, 0xc2ce8ed0, v66
	v_rndne_f32_e32 v68, v67
	v_fma_f32 v69, 0x3fb8aa3b, v66, -v67
	s_delay_alu instid0(VALU_DEP_2) | instskip(NEXT) | instid1(VALU_DEP_2)
	v_sub_f32_e32 v67, v67, v68
	v_fmac_f32_e32 v69, 0x32a5705f, v66
	v_cvt_i32_f32_e32 v68, v68
	s_delay_alu instid0(VALU_DEP_2) | instskip(NEXT) | instid1(VALU_DEP_1)
	v_add_f32_e32 v67, v67, v69
	v_exp_f32_e32 v67, v67
	s_delay_alu instid0(TRANS32_DEP_1) | instskip(SKIP_1) | instid1(VALU_DEP_1)
	v_ldexp_f32 v67, v67, v68
	s_wait_alu 0xfffd
	v_cndmask_b32_e32 v67, 0, v67, vcc_lo
	v_cmp_nlt_f32_e32 vcc_lo, 0x42b17218, v66
	s_wait_alu 0xfffd
	s_delay_alu instid0(VALU_DEP_2) | instskip(NEXT) | instid1(VALU_DEP_1)
	v_cndmask_b32_e32 v66, 0x7f800000, v67, vcc_lo
	v_add_f32_e32 v66, 1.0, v66
	s_delay_alu instid0(VALU_DEP_1) | instskip(NEXT) | instid1(TRANS32_DEP_1)
	v_rcp_f32_e32 v66, v66
	v_fma_f32 v66, v66, -2.0, 1.0
.LBB21_39:                              ;   in Loop: Header=BB21_17 Depth=1
	s_wait_alu 0xfffe
	s_and_not1_saveexec_b32 s24, s24
	s_cbranch_execz .LBB21_41
; %bb.40:                               ;   in Loop: Header=BB21_17 Depth=1
	v_mul_f32_e32 v66, v48, v48
	s_delay_alu instid0(VALU_DEP_1) | instskip(NEXT) | instid1(VALU_DEP_1)
	v_fmaak_f32 v67, s3, v66, 0x3ca908c9
	v_fmaak_f32 v67, v66, v67, 0xbd5c1c4e
	s_delay_alu instid0(VALU_DEP_1) | instskip(NEXT) | instid1(VALU_DEP_1)
	v_fmaak_f32 v67, v66, v67, 0x3e088382
	v_fmaak_f32 v67, v66, v67, 0xbeaaaa99
	s_delay_alu instid0(VALU_DEP_1) | instskip(NEXT) | instid1(VALU_DEP_1)
	v_mul_f32_e64 v67, |v48|, v67
	v_fma_f32 v66, v66, v67, |v48|
.LBB21_41:                              ;   in Loop: Header=BB21_17 Depth=1
	s_wait_alu 0xfffe
	s_or_b32 exec_lo, exec_lo, s24
	v_bfi_b32 v47, 0x7fffffff, v65, v47
	s_delay_alu instid0(VALU_DEP_2) | instskip(SKIP_1) | instid1(VALU_DEP_3)
	v_bfi_b32 v48, 0x7fffffff, v66, v48
	v_cmp_ngt_f32_e64 s24, 0x3f200000, |v45|
                                        ; implicit-def: $vgpr67
	v_fma_f32 v47, s31, v47, v60
	s_delay_alu instid0(VALU_DEP_3) | instskip(NEXT) | instid1(VALU_DEP_1)
	v_fma_f32 v48, s31, v48, v58
	v_dual_add_f32 v65, 0x40051340, v47 :: v_dual_add_f32 v66, 0x40051340, v48
	s_delay_alu instid0(VALU_DEP_1) | instskip(SKIP_3) | instid1(VALU_DEP_1)
	v_max3_num_f32 v65, v43, v65, v66
	ds_bpermute_b32 v66, v0, v65
	s_wait_dscnt 0x0
	v_max_num_f32_e32 v66, v66, v66
	v_max_num_f32_e32 v65, v65, v66
	ds_bpermute_b32 v66, v59, v65
	s_wait_dscnt 0x0
	v_max_num_f32_e32 v66, v66, v66
	s_delay_alu instid0(VALU_DEP_1) | instskip(SKIP_3) | instid1(VALU_DEP_1)
	v_max_num_f32_e32 v65, v65, v66
	ds_bpermute_b32 v66, v57, v65
	s_wait_dscnt 0x0
	v_max_num_f32_e32 v66, v66, v66
	v_max_num_f32_e32 v65, v65, v66
	ds_bpermute_b32 v66, v56, v65
	s_wait_dscnt 0x0
	v_max_num_f32_e32 v66, v66, v66
	s_delay_alu instid0(VALU_DEP_1)
	v_max_num_f32_e32 v65, v65, v66
	ds_bpermute_b32 v66, v3, v65
	s_and_saveexec_b32 s25, s24
	s_wait_alu 0xfffe
	s_xor_b32 s24, exec_lo, s25
	s_cbranch_execz .LBB21_43
; %bb.42:                               ;   in Loop: Header=BB21_17 Depth=1
	v_add_f32_e64 v67, |v45|, |v45|
	s_delay_alu instid0(VALU_DEP_1) | instskip(SKIP_1) | instid1(VALU_DEP_2)
	v_mul_f32_e32 v68, 0x3fb8aa3b, v67
	v_cmp_ngt_f32_e32 vcc_lo, 0xc2ce8ed0, v67
	v_rndne_f32_e32 v69, v68
	v_fma_f32 v70, 0x3fb8aa3b, v67, -v68
	s_delay_alu instid0(VALU_DEP_2) | instskip(NEXT) | instid1(VALU_DEP_2)
	v_sub_f32_e32 v68, v68, v69
	v_fmac_f32_e32 v70, 0x32a5705f, v67
	v_cvt_i32_f32_e32 v69, v69
	s_delay_alu instid0(VALU_DEP_2) | instskip(NEXT) | instid1(VALU_DEP_1)
	v_add_f32_e32 v68, v68, v70
	v_exp_f32_e32 v68, v68
	s_delay_alu instid0(TRANS32_DEP_1) | instskip(SKIP_1) | instid1(VALU_DEP_1)
	v_ldexp_f32 v68, v68, v69
	s_wait_alu 0xfffd
	v_cndmask_b32_e32 v68, 0, v68, vcc_lo
	v_cmp_nlt_f32_e32 vcc_lo, 0x42b17218, v67
	s_wait_alu 0xfffd
	s_delay_alu instid0(VALU_DEP_2) | instskip(NEXT) | instid1(VALU_DEP_1)
	v_cndmask_b32_e32 v67, 0x7f800000, v68, vcc_lo
	v_add_f32_e32 v67, 1.0, v67
	s_delay_alu instid0(VALU_DEP_1) | instskip(NEXT) | instid1(TRANS32_DEP_1)
	v_rcp_f32_e32 v67, v67
	v_fma_f32 v67, v67, -2.0, 1.0
.LBB21_43:                              ;   in Loop: Header=BB21_17 Depth=1
	s_wait_alu 0xfffe
	s_and_not1_saveexec_b32 s24, s24
	s_cbranch_execz .LBB21_45
; %bb.44:                               ;   in Loop: Header=BB21_17 Depth=1
	v_mul_f32_e32 v67, v45, v45
	s_delay_alu instid0(VALU_DEP_1) | instskip(NEXT) | instid1(VALU_DEP_1)
	v_fmaak_f32 v68, s3, v67, 0x3ca908c9
	v_fmaak_f32 v68, v67, v68, 0xbd5c1c4e
	s_delay_alu instid0(VALU_DEP_1) | instskip(NEXT) | instid1(VALU_DEP_1)
	v_fmaak_f32 v68, v67, v68, 0x3e088382
	v_fmaak_f32 v68, v67, v68, 0xbeaaaa99
	s_delay_alu instid0(VALU_DEP_1) | instskip(NEXT) | instid1(VALU_DEP_1)
	v_mul_f32_e64 v68, |v45|, v68
	v_fma_f32 v67, v67, v68, |v45|
.LBB21_45:                              ;   in Loop: Header=BB21_17 Depth=1
	s_wait_alu 0xfffe
	s_or_b32 exec_lo, exec_lo, s24
	v_cmp_ngt_f32_e64 s24, 0x3f200000, |v46|
                                        ; implicit-def: $vgpr68
	s_and_saveexec_b32 s25, s24
	s_wait_alu 0xfffe
	s_xor_b32 s24, exec_lo, s25
	s_cbranch_execz .LBB21_47
; %bb.46:                               ;   in Loop: Header=BB21_17 Depth=1
	v_add_f32_e64 v68, |v46|, |v46|
	s_delay_alu instid0(VALU_DEP_1) | instskip(SKIP_1) | instid1(VALU_DEP_2)
	v_mul_f32_e32 v69, 0x3fb8aa3b, v68
	v_cmp_ngt_f32_e32 vcc_lo, 0xc2ce8ed0, v68
	v_rndne_f32_e32 v70, v69
	v_fma_f32 v71, 0x3fb8aa3b, v68, -v69
	s_delay_alu instid0(VALU_DEP_2) | instskip(NEXT) | instid1(VALU_DEP_2)
	v_sub_f32_e32 v69, v69, v70
	v_fmac_f32_e32 v71, 0x32a5705f, v68
	v_cvt_i32_f32_e32 v70, v70
	s_delay_alu instid0(VALU_DEP_2) | instskip(NEXT) | instid1(VALU_DEP_1)
	v_add_f32_e32 v69, v69, v71
	v_exp_f32_e32 v69, v69
	s_delay_alu instid0(TRANS32_DEP_1) | instskip(SKIP_1) | instid1(VALU_DEP_1)
	v_ldexp_f32 v69, v69, v70
	s_wait_alu 0xfffd
	v_cndmask_b32_e32 v69, 0, v69, vcc_lo
	v_cmp_nlt_f32_e32 vcc_lo, 0x42b17218, v68
	s_wait_alu 0xfffd
	s_delay_alu instid0(VALU_DEP_2) | instskip(NEXT) | instid1(VALU_DEP_1)
	v_cndmask_b32_e32 v68, 0x7f800000, v69, vcc_lo
	v_add_f32_e32 v68, 1.0, v68
	s_delay_alu instid0(VALU_DEP_1) | instskip(NEXT) | instid1(TRANS32_DEP_1)
	v_rcp_f32_e32 v68, v68
	v_fma_f32 v68, v68, -2.0, 1.0
.LBB21_47:                              ;   in Loop: Header=BB21_17 Depth=1
	s_wait_alu 0xfffe
	s_and_not1_saveexec_b32 s24, s24
	s_cbranch_execz .LBB21_49
; %bb.48:                               ;   in Loop: Header=BB21_17 Depth=1
	v_mul_f32_e32 v68, v46, v46
	s_delay_alu instid0(VALU_DEP_1) | instskip(NEXT) | instid1(VALU_DEP_1)
	v_fmaak_f32 v69, s3, v68, 0x3ca908c9
	v_fmaak_f32 v69, v68, v69, 0xbd5c1c4e
	s_delay_alu instid0(VALU_DEP_1) | instskip(NEXT) | instid1(VALU_DEP_1)
	v_fmaak_f32 v69, v68, v69, 0x3e088382
	v_fmaak_f32 v69, v68, v69, 0xbeaaaa99
	s_delay_alu instid0(VALU_DEP_1) | instskip(NEXT) | instid1(VALU_DEP_1)
	v_mul_f32_e64 v69, |v46|, v69
	v_fma_f32 v68, v68, v69, |v46|
.LBB21_49:                              ;   in Loop: Header=BB21_17 Depth=1
	s_wait_alu 0xfffe
	s_or_b32 exec_lo, exec_lo, s24
	v_bfi_b32 v45, 0x7fffffff, v67, v45
	s_delay_alu instid0(VALU_DEP_2)
	v_bfi_b32 v46, 0x7fffffff, v68, v46
	s_mul_u64 s[24:25], s[4:5], s[10:11]
	s_wait_dscnt 0x0
	s_wait_alu 0xfffe
	s_lshl_b64 s[24:25], s[24:25], 2
	v_dual_fmac_f32 v60, s31, v45 :: v_dual_max_num_f32 v67, v50, v50
	s_wait_alu 0xfffe
	s_add_nc_u64 s[24:25], s[8:9], s[24:25]
	v_fmac_f32_e32 v58, s31, v46
	s_wait_alu 0xfffe
	v_add_co_u32 v69, vcc_lo, s24, v9
	s_wait_alu 0xfffd
	v_add_co_ci_u32_e64 v70, null, s25, v10, vcc_lo
	v_add_co_u32 v71, vcc_lo, s24, v14
	v_dual_add_f32 v45, 0x40051340, v60 :: v_dual_add_f32 v46, 0x40051340, v58
	v_max_num_f32_e32 v65, v65, v65
	s_wait_alu 0xfffd
	v_add_co_ci_u32_e64 v72, null, s25, v15, vcc_lo
	v_add_co_u32 v69, vcc_lo, v69, v28
	s_wait_alu 0xfffd
	v_add_co_ci_u32_e64 v70, null, 0, v70, vcc_lo
	v_add_co_u32 v73, vcc_lo, v71, v28
	v_max3_num_f32 v45, v41, v45, v46
	s_wait_alu 0xfffd
	v_add_co_ci_u32_e64 v74, null, 0, v72, vcc_lo
	s_barrier_signal -1
	s_barrier_wait -1
	global_inv scope:SCOPE_SE
	s_clause 0x1
	global_load_b128 v[69:72], v[69:70], off
	global_load_b128 v[73:76], v[73:74], off
	v_dual_max_num_f32 v46, v66, v66 :: v_dual_max_num_f32 v1, v1, v1
	ds_bpermute_b32 v66, v0, v45
	v_dual_max_num_f32 v2, v2, v2 :: v_dual_add_nc_u32 v77, v24, v11
	v_dual_max_num_f32 v68, v49, v49 :: v_dual_add_nc_u32 v49, 0x3800, v11
	s_or_b32 s24, s4, 32
	s_delay_alu instid0(VALU_DEP_2)
	v_max_num_f32_e32 v0, v1, v2
	s_wait_alu 0xfffe
	s_ashr_i32 s25, s24, 31
	v_max_num_f32_e32 v1, v68, v67
	v_add_nc_u32_e32 v50, 0x3000, v11
	v_max_num_f32_e32 v2, v65, v46
	v_sub_f32_e32 v46, v61, v0
	s_delay_alu instid0(VALU_DEP_4) | instskip(SKIP_1) | instid1(VALU_DEP_4)
	v_dual_sub_f32 v61, v62, v0 :: v_dual_sub_f32 v62, v63, v1
	v_sub_f32_e32 v63, v64, v1
	v_sub_f32_e32 v48, v48, v2
	v_dual_sub_f32 v42, v42, v0 :: v_dual_sub_f32 v43, v43, v2
	s_delay_alu instid0(VALU_DEP_4)
	v_mul_f32_e32 v65, 0x3fb8aa3b, v61
	v_sub_f32_e32 v44, v44, v1
	s_wait_dscnt 0x0
	v_max_num_f32_e32 v66, v66, v66
	v_dual_mul_f32 v78, 0x3fb8aa3b, v63 :: v_dual_mul_f32 v67, 0x3fb8aa3b, v42
	v_sub_f32_e32 v47, v47, v2
	v_dual_mul_f32 v64, 0x3fb8aa3b, v46 :: v_dual_mul_f32 v81, 0x3fb8aa3b, v43
	s_delay_alu instid0(VALU_DEP_4) | instskip(NEXT) | instid1(VALU_DEP_4)
	v_max_num_f32_e32 v45, v45, v66
	v_fma_f32 v86, 0x3fb8aa3b, v42, -v67
	v_fma_f32 v90, 0x3fb8aa3b, v63, -v78
	s_delay_alu instid0(VALU_DEP_4)
	v_fma_f32 v82, 0x3fb8aa3b, v46, -v64
	v_rndne_f32_e32 v83, v64
	ds_bpermute_b32 v59, v59, v45
	v_fma_f32 v84, 0x3fb8aa3b, v61, -v65
	v_rndne_f32_e32 v85, v65
	v_rndne_f32_e32 v99, v81
	v_dual_mul_f32 v79, 0x3fb8aa3b, v44 :: v_dual_mul_f32 v68, 0x3fb8aa3b, v62
	v_rndne_f32_e32 v87, v67
	v_fma_f32 v98, 0x3fb8aa3b, v43, -v81
	v_fmac_f32_e32 v82, 0x32a5705f, v46
	v_dual_fmac_f32 v84, 0x32a5705f, v61 :: v_dual_sub_f32 v81, v81, v99
	v_dual_sub_f32 v65, v65, v85 :: v_dual_sub_f32 v64, v64, v83
	v_rndne_f32_e32 v93, v79
	v_mul_f32_e32 v66, 0x3fb8aa3b, v47
	v_rndne_f32_e32 v89, v68
	s_delay_alu instid0(VALU_DEP_4)
	v_add_f32_e32 v65, v65, v84
	v_fma_f32 v92, 0x3fb8aa3b, v44, -v79
	v_sub_f32_e32 v79, v79, v93
	v_fma_f32 v94, 0x3fb8aa3b, v47, -v66
	s_wait_dscnt 0x0
	v_dual_max_num_f32 v59, v59, v59 :: v_dual_mul_f32 v80, 0x3fb8aa3b, v48
	v_fma_f32 v88, 0x3fb8aa3b, v62, -v68
	v_cvt_i32_f32_e32 v83, v83
	v_exp_f32_e32 v65, v65
	s_delay_alu instid0(VALU_DEP_3)
	v_max_num_f32_e32 v45, v45, v59
	v_dual_sub_f32 v59, v67, v87 :: v_dual_add_f32 v64, v64, v82
	v_cvt_i32_f32_e32 v85, v85
	v_cmp_ngt_f32_e32 vcc_lo, 0xc2ce8ed0, v46
	ds_bpermute_b32 v57, v57, v45
	v_fmac_f32_e32 v86, 0x32a5705f, v42
	v_exp_f32_e32 v64, v64
	v_cvt_i32_f32_e32 v67, v87
	v_ldexp_f32 v65, v65, v85
	v_rndne_f32_e32 v91, v78
	v_fma_f32 v96, 0x3fb8aa3b, v48, -v80
	v_rndne_f32_e32 v97, v80
	v_cvt_i32_f32_e32 v87, v89
	v_rndne_f32_e32 v95, v66
	s_wait_alu 0xfffe
	s_mul_u64 s[24:25], s[24:25], s[10:11]
	v_ldexp_f32 v64, v64, v83
	v_sub_f32_e32 v80, v80, v97
	s_wait_alu 0xfffe
	s_lshl_b64 s[24:25], s[24:25], 2
	s_wait_alu 0xfffe
	s_add_nc_u64 s[24:25], s[8:9], s[24:25]
	s_wait_alu 0xfffd
	v_cndmask_b32_e32 v64, 0, v64, vcc_lo
	v_cmp_ngt_f32_e32 vcc_lo, 0xc2ce8ed0, v61
	s_wait_dscnt 0x0
	v_dual_fmac_f32 v92, 0x32a5705f, v44 :: v_dual_max_num_f32 v57, v57, v57
	v_fmac_f32_e32 v90, 0x32a5705f, v63
	v_dual_sub_f32 v68, v68, v89 :: v_dual_add_f32 v59, v59, v86
	s_wait_alu 0xfffd
	v_cndmask_b32_e32 v65, 0, v65, vcc_lo
	v_dual_max_num_f32 v45, v45, v57 :: v_dual_fmac_f32 v88, 0x32a5705f, v62
	v_add_f32_e32 v79, v79, v92
	v_exp_f32_e32 v59, v59
	v_cmp_ngt_f32_e32 vcc_lo, 0xc2ce8ed0, v42
	ds_bpermute_b32 v56, v56, v45
	v_cvt_i32_f32_e32 v89, v91
	v_exp_f32_e32 v79, v79
	v_ldexp_f32 v59, v59, v67
	s_wait_alu 0xfffd
	s_delay_alu instid0(VALU_DEP_1) | instskip(NEXT) | instid1(VALU_DEP_1)
	v_dual_fmac_f32 v96, 0x32a5705f, v48 :: v_dual_cndmask_b32 v59, 0, v59
	v_dual_sub_f32 v78, v78, v91 :: v_dual_add_f32 v57, v80, v96
	v_cmp_ngt_f32_e32 vcc_lo, 0xc2ce8ed0, v62
	v_cvt_i32_f32_e32 v91, v93
	v_cvt_i32_f32_e32 v93, v95
	s_wait_dscnt 0x0
	v_max_num_f32_e32 v56, v56, v56
	v_fmac_f32_e32 v94, 0x32a5705f, v47
	v_exp_f32_e32 v57, v57
	s_delay_alu instid0(VALU_DEP_2) | instskip(SKIP_4) | instid1(VALU_DEP_2)
	v_max_num_f32_e32 v45, v45, v56
	ds_bpermute_b32 v3, v3, v45
	s_wait_dscnt 0x0
	v_dual_add_f32 v68, v68, v88 :: v_dual_max_num_f32 v3, v3, v3
	v_add_f32_e32 v78, v78, v90
	v_exp_f32_e32 v68, v68
	s_delay_alu instid0(VALU_DEP_2) | instskip(NEXT) | instid1(VALU_DEP_2)
	v_max_num_f32_e32 v3, v45, v3
	v_exp_f32_e32 v78, v78
	s_delay_alu instid0(VALU_DEP_1) | instskip(SKIP_1) | instid1(TRANS32_DEP_2)
	v_sub_f32_e32 v41, v41, v3
	v_sub_f32_e32 v60, v60, v3
	v_ldexp_f32 v67, v68, v87
	v_sub_f32_e32 v58, v58, v3
	s_delay_alu instid0(TRANS32_DEP_1) | instskip(SKIP_1) | instid1(VALU_DEP_3)
	v_ldexp_f32 v68, v78, v89
	s_wait_alu 0xfffd
	v_cndmask_b32_e32 v56, 0, v67, vcc_lo
	v_cmp_ngt_f32_e32 vcc_lo, 0xc2ce8ed0, v63
	v_sub_f32_e32 v66, v66, v95
	v_ldexp_f32 v78, v79, v91
	v_cvt_i32_f32_e32 v95, v97
	s_wait_alu 0xfffd
	s_delay_alu instid0(VALU_DEP_3) | instskip(SKIP_1) | instid1(VALU_DEP_3)
	v_dual_cndmask_b32 v67, 0, v68 :: v_dual_add_f32 v66, v66, v94
	v_cmp_ngt_f32_e32 vcc_lo, 0xc2ce8ed0, v44
	v_ldexp_f32 v57, v57, v95
	s_delay_alu instid0(VALU_DEP_3) | instskip(SKIP_3) | instid1(TRANS32_DEP_1)
	v_exp_f32_e32 v66, v66
	s_wait_alu 0xfffd
	v_cndmask_b32_e32 v68, 0, v78, vcc_lo
	v_cmp_ngt_f32_e32 vcc_lo, 0xc2ce8ed0, v47
	v_ldexp_f32 v66, v66, v93
	s_wait_alu 0xfffd
	s_delay_alu instid0(VALU_DEP_1) | instskip(SKIP_3) | instid1(VALU_DEP_1)
	v_cndmask_b32_e32 v66, 0, v66, vcc_lo
	v_cmp_ngt_f32_e32 vcc_lo, 0xc2ce8ed0, v48
	s_wait_alu 0xfffd
	v_dual_fmac_f32 v98, 0x32a5705f, v43 :: v_dual_cndmask_b32 v57, 0, v57
	v_add_f32_e32 v80, v81, v98
	v_cvt_i32_f32_e32 v81, v99
	v_cmp_ngt_f32_e32 vcc_lo, 0xc2ce8ed0, v43
	s_delay_alu instid0(VALU_DEP_3) | instskip(NEXT) | instid1(TRANS32_DEP_1)
	v_exp_f32_e32 v80, v80
	v_ldexp_f32 v79, v80, v81
	s_wait_alu 0xfffd
	s_delay_alu instid0(VALU_DEP_1)
	v_cndmask_b32_e32 v78, 0, v79, vcc_lo
	v_cmp_nlt_f32_e32 vcc_lo, 0x42b17218, v46
	s_wait_alu 0xfffd
	v_cndmask_b32_e32 v46, 0x7f800000, v64, vcc_lo
	v_cmp_nlt_f32_e32 vcc_lo, 0x42b17218, v61
	v_mul_f32_e32 v64, 0x3fb8aa3b, v60
	s_wait_alu 0xfffd
	v_cndmask_b32_e32 v61, 0x7f800000, v65, vcc_lo
	v_cmp_nlt_f32_e32 vcc_lo, 0x42b17218, v42
	v_mul_f32_e32 v65, 0x3fb8aa3b, v41
	s_wait_alu 0xfffd
	s_delay_alu instid0(VALU_DEP_3) | instskip(SKIP_1) | instid1(VALU_DEP_3)
	v_dual_add_f32 v45, v46, v61 :: v_dual_cndmask_b32 v42, 0x7f800000, v59
	v_cmp_nlt_f32_e32 vcc_lo, 0x42b17218, v62
	v_fma_f32 v79, 0x3fb8aa3b, v41, -v65
	v_rndne_f32_e32 v80, v65
	v_cvt_f16_f32_e32 v61, v61
	v_fmac_f32_e32 v45, v40, v42
	v_cvt_f16_f32_e32 v62, v42
	v_fmac_f32_e32 v79, 0x32a5705f, v41
	s_wait_alu 0xfffd
	v_cndmask_b32_e32 v56, 0x7f800000, v56, vcc_lo
	v_cmp_nlt_f32_e32 vcc_lo, 0x42b17218, v63
	v_sub_f32_e32 v65, v65, v80
	v_cvt_i32_f32_e32 v42, v80
	v_and_b32_e32 v62, 0xffff, v62
	s_wait_alu 0xfffd
	v_cndmask_b32_e32 v59, 0x7f800000, v67, vcc_lo
	v_cmp_nlt_f32_e32 vcc_lo, 0x42b17218, v44
	v_rndne_f32_e32 v67, v64
	v_add_f32_e32 v65, v65, v79
	v_mul_u32_u24_e32 v92, 0x10001, v62
	s_wait_alu 0xfffd
	v_cndmask_b32_e32 v44, 0x7f800000, v68, vcc_lo
	v_cmp_nlt_f32_e32 vcc_lo, 0x42b17218, v47
	v_exp_f32_e32 v65, v65
	v_pk_mul_f16 v36, v36, v92
	s_delay_alu instid0(VALU_DEP_3)
	v_cvt_f16_f32_e32 v81, v44
	s_wait_alu 0xfffd
	v_cndmask_b32_e32 v47, 0x7f800000, v66, vcc_lo
	v_cmp_nlt_f32_e32 vcc_lo, 0x42b17218, v48
	v_fma_f32 v66, 0x3fb8aa3b, v60, -v64
	v_sub_f32_e32 v64, v64, v67
	v_cvt_i32_f32_e32 v67, v67
	s_wait_alu 0xfffd
	v_cndmask_b32_e32 v48, 0x7f800000, v57, vcc_lo
	v_cmp_nlt_f32_e32 vcc_lo, 0x42b17218, v43
	v_fmac_f32_e32 v66, 0x32a5705f, v60
	v_cvt_f16_f32_e32 v57, v46
	s_delay_alu instid0(VALU_DEP_2)
	v_add_f32_e32 v64, v64, v66
	v_cvt_f16_f32_e32 v66, v47
	v_add_f32_e32 v47, v47, v48
	s_wait_alu 0xfffd
	v_cndmask_b32_e32 v43, 0x7f800000, v78, vcc_lo
	v_cvt_f16_f32_e32 v48, v48
	v_exp_f32_e32 v64, v64
	s_delay_alu instid0(VALU_DEP_2) | instskip(SKIP_4) | instid1(TRANS32_DEP_1)
	v_fmac_f32_e32 v47, v38, v43
	v_cvt_f16_f32_e32 v63, v56
	v_add_f32_e32 v46, v56, v59
	v_mul_f32_e32 v56, 0x3fb8aa3b, v58
	v_cvt_f16_f32_e32 v59, v59
	v_ldexp_f32 v64, v64, v67
	s_delay_alu instid0(VALU_DEP_3) | instskip(SKIP_2) | instid1(VALU_DEP_3)
	v_fma_f32 v68, 0x3fb8aa3b, v58, -v56
	v_rndne_f32_e32 v78, v56
	v_fmac_f32_e32 v46, v39, v44
	v_fmac_f32_e32 v68, 0x32a5705f, v58
	s_delay_alu instid0(VALU_DEP_3) | instskip(SKIP_1) | instid1(VALU_DEP_2)
	v_sub_f32_e32 v56, v56, v78
	v_cvt_i32_f32_e32 v40, v78
	v_add_f32_e32 v56, v56, v68
	v_cvt_f16_f32_e32 v68, v43
	s_delay_alu instid0(VALU_DEP_2) | instskip(NEXT) | instid1(VALU_DEP_1)
	v_exp_f32_e32 v56, v56
	v_and_b32_e32 v43, 0xffff, v68
	v_cmp_ngt_f32_e32 vcc_lo, 0xc2ce8ed0, v60
	s_delay_alu instid0(VALU_DEP_2) | instskip(NEXT) | instid1(TRANS32_DEP_1)
	v_mul_u32_u24_e32 v43, 0x10001, v43
	v_ldexp_f32 v39, v56, v40
	v_ldexp_f32 v40, v65, v42
	s_wait_alu 0xfffd
	v_cndmask_b32_e32 v42, 0, v64, vcc_lo
	v_cmp_ngt_f32_e32 vcc_lo, 0xc2ce8ed0, v58
	v_pk_mul_f16 v33, v33, v43
	s_wait_alu 0xfffd
	v_cndmask_b32_e32 v39, 0, v39, vcc_lo
	v_cmp_ngt_f32_e32 vcc_lo, 0xc2ce8ed0, v41
	s_wait_alu 0xfffd
	v_cndmask_b32_e32 v40, 0, v40, vcc_lo
	v_cmp_nlt_f32_e32 vcc_lo, 0x42b17218, v60
	s_wait_alu 0xfffd
	v_cndmask_b32_e32 v44, 0x7f800000, v42, vcc_lo
	v_cmp_nlt_f32_e32 vcc_lo, 0x42b17218, v58
	v_and_b32_e32 v58, 0xffff, v81
	s_wait_alu 0xfffd
	v_cndmask_b32_e32 v56, 0x7f800000, v39, vcc_lo
	v_cmp_nlt_f32_e32 vcc_lo, 0x42b17218, v41
	v_pack_b32_f16 v39, v57, v63
	v_pack_b32_f16 v41, v61, v59
	s_delay_alu instid0(VALU_DEP_4)
	v_cvt_f16_f32_e32 v42, v56
	s_wait_alu 0xfffd
	v_cndmask_b32_e32 v60, 0x7f800000, v40, vcc_lo
	v_cvt_f16_f32_e32 v40, v44
	s_wait_alu 0xfffe
	v_add_co_u32 v128, vcc_lo, s24, v9
	v_pack_b32_f16 v42, v48, v42
	v_cvt_f16_f32_e32 v57, v60
	v_pack_b32_f16 v40, v66, v40
	ds_store_2addr_b64 v77, v[39:40], v[41:42] offset1:32
	s_wait_loadcnt 0x1
	ds_store_b128 v25, v[69:72]
	s_wait_loadcnt 0x0
	ds_store_b128 v26, v[73:76]
	s_wait_dscnt 0x0
	s_barrier_signal -1
	s_barrier_wait -1
	global_inv scope:SCOPE_SE
	ds_load_b128 v[38:41], v24
	v_dual_add_f32 v48, v44, v56 :: v_dual_and_b32 v57, 0xffff, v57
	v_mul_u32_u24_e32 v42, 0x10001, v58
	s_wait_alu 0xfffd
	v_add_co_ci_u32_e64 v129, null, s25, v10, vcc_lo
	s_delay_alu instid0(VALU_DEP_3)
	v_mul_u32_u24_e32 v44, 0x10001, v57
	ds_load_b128 v[56:59], v24 offset:16
	v_fmac_f32_e32 v48, v37, v60
	ds_load_2addr_b64 v[60:63], v50 offset1:32
	ds_load_b128 v[64:67], v24 offset:32
	ds_load_b128 v[68:71], v24 offset:48
	ds_load_2addr_b64 v[72:75], v50 offset0:64 offset1:96
	ds_load_2addr_b64 v[76:79], v50 offset0:128 offset1:160
	;; [unrolled: 1-line block ×3, first 2 shown]
	ds_load_2addr_b64 v[84:87], v49 offset1:32
	ds_load_b128 v[88:91], v24 offset:64
	v_pk_mul_f16 v35, v35, v42
	v_pk_mul_f16 v31, v31, v44
	;; [unrolled: 1-line block ×3, first 2 shown]
	v_add_co_u32 v130, vcc_lo, s24, v14
	s_wait_alu 0xfffd
	v_add_co_ci_u32_e64 v131, null, s25, v15, vcc_lo
	v_add_co_u32 v128, vcc_lo, v128, v28
	s_wait_alu 0xfffd
	v_add_co_ci_u32_e64 v129, null, 0, v129, vcc_lo
	s_wait_dscnt 0x9
	v_lshrrev_b32_e32 v37, 16, v38
	v_lshrrev_b32_e32 v44, 16, v39
	v_and_b32_e32 v38, 0xffff, v38
	v_and_b32_e32 v39, 0xffff, v39
	v_lshrrev_b32_e32 v93, 16, v40
	v_mul_u32_u24_e32 v37, 0x10001, v37
	v_lshrrev_b32_e32 v94, 16, v41
	v_mul_u32_u24_e32 v38, 0x10001, v38
	v_mul_u32_u24_e32 v39, 0x10001, v39
	v_and_b32_e32 v40, 0xffff, v40
	v_and_b32_e32 v41, 0xffff, v41
	v_mul_u32_u24_e32 v44, 0x10001, v44
	s_wait_dscnt 0x7
	v_pk_mul_f16 v107, v60, v38
	v_pk_mul_f16 v108, v60, v37
	v_pk_mul_f16 v109, v60, v39
	v_lshrrev_b32_e32 v95, 16, v56
	v_lshrrev_b32_e32 v96, 16, v57
	v_and_b32_e32 v56, 0xffff, v56
	v_and_b32_e32 v57, 0xffff, v57
	v_mul_u32_u24_e32 v40, 0x10001, v40
	v_mul_u32_u24_e32 v93, 0x10001, v93
	;; [unrolled: 1-line block ×4, first 2 shown]
	v_pk_fma_f16 v31, v60, v44, v31
	v_pk_fma_f16 v35, v61, v37, v35
	;; [unrolled: 1-line block ×6, first 2 shown]
	v_lshrrev_b32_e32 v97, 16, v58
	v_lshrrev_b32_e32 v98, 16, v59
	v_and_b32_e32 v58, 0xffff, v58
	v_and_b32_e32 v59, 0xffff, v59
	v_mul_u32_u24_e32 v56, 0x10001, v56
	v_mul_u32_u24_e32 v95, 0x10001, v95
	;; [unrolled: 1-line block ×4, first 2 shown]
	v_pk_fma_f16 v36, v61, v38, v36
	v_pk_fma_f16 v33, v61, v39, v33
	;; [unrolled: 1-line block ×8, first 2 shown]
	s_wait_dscnt 0x6
	v_lshrrev_b32_e32 v99, 16, v64
	v_lshrrev_b32_e32 v100, 16, v65
	v_and_b32_e32 v64, 0xffff, v64
	v_and_b32_e32 v65, 0xffff, v65
	v_mul_u32_u24_e32 v58, 0x10001, v58
	v_mul_u32_u24_e32 v97, 0x10001, v97
	;; [unrolled: 1-line block ×4, first 2 shown]
	v_pk_fma_f16 v36, v63, v40, v36
	v_pk_fma_f16 v33, v63, v41, v33
	s_wait_dscnt 0x4
	v_pk_fma_f16 v31, v72, v96, v31
	v_pk_fma_f16 v35, v73, v95, v35
	;; [unrolled: 1-line block ×6, first 2 shown]
	v_lshrrev_b32_e32 v101, 16, v66
	v_lshrrev_b32_e32 v102, 16, v67
	v_and_b32_e32 v66, 0xffff, v66
	v_and_b32_e32 v67, 0xffff, v67
	v_mul_u32_u24_e32 v64, 0x10001, v64
	v_mul_u32_u24_e32 v99, 0x10001, v99
	;; [unrolled: 1-line block ×4, first 2 shown]
	v_pk_fma_f16 v36, v73, v56, v36
	v_pk_fma_f16 v33, v73, v57, v33
	;; [unrolled: 1-line block ×8, first 2 shown]
	v_lshrrev_b32_e32 v103, 16, v68
	v_lshrrev_b32_e32 v104, 16, v69
	v_and_b32_e32 v68, 0xffff, v68
	v_and_b32_e32 v69, 0xffff, v69
	v_mul_u32_u24_e32 v66, 0x10001, v66
	v_mul_u32_u24_e32 v101, 0x10001, v101
	;; [unrolled: 1-line block ×4, first 2 shown]
	v_pk_fma_f16 v36, v75, v58, v36
	v_pk_fma_f16 v33, v75, v59, v33
	s_wait_dscnt 0x3
	v_pk_fma_f16 v31, v76, v100, v31
	v_pk_fma_f16 v35, v77, v99, v35
	;; [unrolled: 1-line block ×6, first 2 shown]
	v_lshrrev_b32_e32 v105, 16, v70
	v_lshrrev_b32_e32 v106, 16, v71
	v_and_b32_e32 v70, 0xffff, v70
	v_and_b32_e32 v71, 0xffff, v71
	v_mul_u32_u24_e32 v68, 0x10001, v68
	v_mul_u32_u24_e32 v103, 0x10001, v103
	;; [unrolled: 1-line block ×4, first 2 shown]
	v_pk_fma_f16 v36, v77, v64, v36
	v_pk_fma_f16 v33, v77, v65, v33
	;; [unrolled: 1-line block ×8, first 2 shown]
	v_mul_u32_u24_e32 v70, 0x10001, v70
	v_mul_u32_u24_e32 v105, 0x10001, v105
	;; [unrolled: 1-line block ×4, first 2 shown]
	v_pk_fma_f16 v36, v79, v66, v36
	v_pk_fma_f16 v33, v79, v67, v33
	s_wait_dscnt 0x2
	v_pk_fma_f16 v31, v80, v104, v31
	v_pk_fma_f16 v35, v81, v103, v35
	;; [unrolled: 1-line block ×6, first 2 shown]
	s_wait_dscnt 0x0
	v_lshrrev_b32_e32 v42, 16, v88
	v_lshrrev_b32_e32 v44, 16, v89
	v_pk_fma_f16 v36, v81, v68, v36
	v_pk_fma_f16 v33, v81, v69, v33
	;; [unrolled: 1-line block ×7, first 2 shown]
	ds_load_b128 v[29:32], v24 offset:80
	v_and_b32_e32 v41, 0xffff, v88
	v_and_b32_e32 v43, 0xffff, v89
	v_mul_u32_u24_e32 v42, 0x10001, v42
	v_mul_u32_u24_e32 v44, 0x10001, v44
	v_pk_fma_f16 v36, v83, v70, v36
	v_pk_fma_f16 v33, v83, v71, v33
	v_mul_u32_u24_e32 v41, 0x10001, v41
	v_mul_u32_u24_e32 v43, 0x10001, v43
	v_pk_fma_f16 v39, v84, v42, v39
	v_pk_fma_f16 v56, v84, v44, v34
	;; [unrolled: 1-line block ×3, first 2 shown]
	v_and_b32_e32 v34, 0xffff, v90
	v_lshrrev_b32_e32 v35, 16, v90
	v_pk_fma_f16 v38, v84, v41, v38
	v_pk_fma_f16 v40, v84, v43, v40
	;; [unrolled: 1-line block ×4, first 2 shown]
	v_lshrrev_b32_e32 v58, 16, v91
	v_mul_u32_u24_e32 v59, 0x10001, v34
	v_mul_u32_u24_e32 v60, 0x10001, v35
	ds_load_2addr_b64 v[33:36], v49 offset0:64 offset1:96
	v_pk_fma_f16 v37, v83, v106, v37
	v_mul_u32_u24_e32 v58, 0x10001, v58
	v_and_b32_e32 v57, 0xffff, v91
	v_pk_fma_f16 v38, v86, v59, v38
	v_pk_fma_f16 v39, v86, v60, v39
	;; [unrolled: 1-line block ×4, first 2 shown]
	s_wait_dscnt 0x1
	v_and_b32_e32 v56, 0xffff, v29
	v_lshrrev_b32_e32 v29, 16, v29
	v_mul_u32_u24_e32 v57, 0x10001, v57
	v_pk_fma_f16 v41, v87, v59, v41
	v_pk_fma_f16 v42, v87, v60, v42
	v_and_b32_e32 v59, 0xffff, v30
	v_lshrrev_b32_e32 v30, 16, v30
	v_mul_u32_u24_e32 v29, 0x10001, v29
	v_add_co_u32 v132, vcc_lo, v130, v28
	v_pk_fma_f16 v40, v86, v57, v40
	v_pk_fma_f16 v136, v87, v57, v43
	v_mul_u32_u24_e32 v43, 0x10001, v56
	v_mul_u32_u24_e32 v137, 0x10001, v59
	;; [unrolled: 1-line block ×3, first 2 shown]
	s_wait_dscnt 0x0
	v_pk_fma_f16 v141, v33, v29, v39
	v_pk_fma_f16 v144, v34, v29, v42
	v_add_nc_u32_e32 v30, 0x4000, v11
	v_add_nc_u32_e32 v29, 0x4800, v11
	s_wait_alu 0xfffd
	v_add_co_ci_u32_e64 v133, null, 0, v131, vcc_lo
	v_pk_fma_f16 v139, v87, v58, v37
	v_pk_fma_f16 v140, v33, v43, v38
	;; [unrolled: 1-line block ×5, first 2 shown]
	ds_load_2addr_b64 v[37:40], v49 offset0:128 offset1:160
	ds_load_2addr_b64 v[41:44], v49 offset0:192 offset1:224
	ds_load_b128 v[56:59], v24 offset:96
	ds_load_b128 v[60:63], v24 offset:112
	ds_load_2addr_b64 v[64:67], v30 offset1:32
	ds_load_2addr_b64 v[68:71], v30 offset0:64 offset1:96
	ds_load_b128 v[72:75], v24 offset:128
	ds_load_b128 v[76:79], v24 offset:144
	ds_load_2addr_b64 v[80:83], v30 offset0:128 offset1:160
	ds_load_2addr_b64 v[84:87], v30 offset0:192 offset1:224
	ds_load_b128 v[88:91], v24 offset:160
	ds_load_b128 v[92:95], v24 offset:176
	ds_load_2addr_b64 v[96:99], v29 offset1:32
	ds_load_2addr_b64 v[100:103], v29 offset0:64 offset1:96
	ds_load_b128 v[104:107], v24 offset:192
	ds_load_b128 v[108:111], v24 offset:208
	ds_load_2addr_b64 v[112:115], v29 offset0:128 offset1:160
	ds_load_2addr_b64 v[116:119], v29 offset0:192 offset1:224
	ds_load_b128 v[120:123], v24 offset:224
	ds_load_b128 v[124:127], v24 offset:240
	s_wait_loadcnt_dscnt 0x0
	s_barrier_signal -1
	s_barrier_wait -1
	global_inv scope:SCOPE_SE
	s_clause 0x1
	global_load_b128 v[128:131], v[128:129], off
	global_load_b128 v[132:135], v[132:133], off
	v_lshrrev_b32_e32 v145, 16, v31
	v_and_b32_e32 v31, 0xffff, v31
	v_and_b32_e32 v146, 0xffff, v32
	v_lshrrev_b32_e32 v32, 16, v32
	v_pk_fma_f16 v136, v34, v137, v136
	v_mul_u32_u24_e32 v137, 0x10001, v145
	v_mul_u32_u24_e32 v31, 0x10001, v31
	;; [unrolled: 1-line block ×4, first 2 shown]
	v_pk_fma_f16 v34, v34, v138, v139
	v_pk_fma_f16 v139, v35, v137, v141
	;; [unrolled: 1-line block ×6, first 2 shown]
	v_and_b32_e32 v137, 0xffff, v56
	v_lshrrev_b32_e32 v56, 16, v56
	v_and_b32_e32 v141, 0xffff, v57
	v_lshrrev_b32_e32 v57, 16, v57
	v_pk_fma_f16 v31, v36, v31, v143
	v_mul_u32_u24_e32 v137, 0x10001, v137
	v_mul_u32_u24_e32 v56, 0x10001, v56
	;; [unrolled: 1-line block ×4, first 2 shown]
	v_pk_fma_f16 v136, v36, v145, v136
	v_pk_fma_f16 v32, v36, v32, v34
	v_pk_fma_f16 v34, v37, v137, v138
	v_pk_fma_f16 v36, v37, v56, v139
	v_pk_fma_f16 v138, v37, v141, v140
	v_pk_fma_f16 v33, v37, v57, v33
	v_and_b32_e32 v37, 0xffff, v58
	v_pk_fma_f16 v31, v38, v137, v31
	v_pk_fma_f16 v35, v38, v56, v35
	v_lshrrev_b32_e32 v56, 16, v58
	v_and_b32_e32 v58, 0xffff, v59
	v_lshrrev_b32_e32 v59, 16, v59
	v_mul_u32_u24_e32 v37, 0x10001, v37
	v_pk_fma_f16 v136, v38, v141, v136
	v_mul_u32_u24_e32 v56, 0x10001, v56
	v_mul_u32_u24_e32 v58, 0x10001, v58
	;; [unrolled: 1-line block ×3, first 2 shown]
	v_pk_fma_f16 v34, v39, v37, v34
	v_pk_fma_f16 v31, v40, v37, v31
	v_and_b32_e32 v37, 0xffff, v60
	v_pk_fma_f16 v32, v38, v57, v32
	v_pk_fma_f16 v36, v39, v56, v36
	;; [unrolled: 1-line block ×4, first 2 shown]
	v_lshrrev_b32_e32 v39, 16, v60
	v_mul_u32_u24_e32 v37, 0x10001, v37
	v_pk_fma_f16 v35, v40, v56, v35
	v_and_b32_e32 v56, 0xffff, v61
	v_lshrrev_b32_e32 v57, 16, v61
	v_mul_u32_u24_e32 v39, 0x10001, v39
	v_pk_fma_f16 v34, v41, v37, v34
	v_pk_fma_f16 v31, v42, v37, v31
	v_and_b32_e32 v37, 0xffff, v62
	v_mul_u32_u24_e32 v56, 0x10001, v56
	v_pk_fma_f16 v36, v41, v39, v36
	v_pk_fma_f16 v35, v42, v39, v35
	v_lshrrev_b32_e32 v39, 16, v62
	v_mul_u32_u24_e32 v37, 0x10001, v37
	v_mul_u32_u24_e32 v57, 0x10001, v57
	v_pk_fma_f16 v58, v40, v58, v136
	v_pk_fma_f16 v32, v40, v59, v32
	v_mul_u32_u24_e32 v39, 0x10001, v39
	v_pk_fma_f16 v34, v43, v37, v34
	v_pk_fma_f16 v31, v44, v37, v31
	v_and_b32_e32 v37, 0xffff, v72
	v_pk_fma_f16 v38, v41, v56, v38
	v_pk_fma_f16 v36, v43, v39, v36
	;; [unrolled: 1-line block ×3, first 2 shown]
	v_lshrrev_b32_e32 v39, 16, v72
	v_mul_u32_u24_e32 v37, 0x10001, v37
	v_pk_fma_f16 v33, v41, v57, v33
	v_and_b32_e32 v40, 0xffff, v63
	v_lshrrev_b32_e32 v41, 16, v63
	v_mul_u32_u24_e32 v39, 0x10001, v39
	v_pk_fma_f16 v34, v64, v37, v34
	v_pk_fma_f16 v31, v65, v37, v31
	v_and_b32_e32 v37, 0xffff, v74
	v_mul_u32_u24_e32 v40, 0x10001, v40
	v_pk_fma_f16 v36, v64, v39, v36
	v_pk_fma_f16 v35, v65, v39, v35
	v_lshrrev_b32_e32 v39, 16, v74
	v_mul_u32_u24_e32 v37, 0x10001, v37
	v_mul_u32_u24_e32 v41, 0x10001, v41
	v_pk_fma_f16 v56, v42, v56, v58
	v_pk_fma_f16 v32, v42, v57, v32
	v_mul_u32_u24_e32 v39, 0x10001, v39
	v_pk_fma_f16 v34, v66, v37, v34
	v_pk_fma_f16 v31, v67, v37, v31
	v_and_b32_e32 v37, 0xffff, v76
	v_pk_fma_f16 v38, v43, v40, v38
	v_pk_fma_f16 v36, v66, v39, v36
	;; [unrolled: 1-line block ×3, first 2 shown]
	v_lshrrev_b32_e32 v39, 16, v76
	v_mul_u32_u24_e32 v37, 0x10001, v37
	v_pk_fma_f16 v33, v43, v41, v33
	v_and_b32_e32 v42, 0xffff, v73
	v_lshrrev_b32_e32 v43, 16, v73
	v_mul_u32_u24_e32 v39, 0x10001, v39
	v_pk_fma_f16 v34, v68, v37, v34
	v_pk_fma_f16 v31, v69, v37, v31
	v_and_b32_e32 v37, 0xffff, v78
	v_pk_fma_f16 v40, v44, v40, v56
	v_pk_fma_f16 v36, v68, v39, v36
	;; [unrolled: 1-line block ×3, first 2 shown]
	v_lshrrev_b32_e32 v39, 16, v78
	v_mul_u32_u24_e32 v37, 0x10001, v37
	v_mul_u32_u24_e32 v42, 0x10001, v42
	;; [unrolled: 1-line block ×3, first 2 shown]
	v_pk_fma_f16 v32, v44, v41, v32
	v_mul_u32_u24_e32 v39, 0x10001, v39
	v_pk_fma_f16 v34, v70, v37, v34
	v_pk_fma_f16 v31, v71, v37, v31
	v_and_b32_e32 v37, 0xffff, v88
	v_and_b32_e32 v41, 0xffff, v75
	v_pk_fma_f16 v36, v70, v39, v36
	v_pk_fma_f16 v35, v71, v39, v35
	v_lshrrev_b32_e32 v39, 16, v88
	v_mul_u32_u24_e32 v37, 0x10001, v37
	v_lshrrev_b32_e32 v44, 16, v75
	v_pk_fma_f16 v38, v64, v42, v38
	v_pk_fma_f16 v33, v64, v43, v33
	v_mul_u32_u24_e32 v39, 0x10001, v39
	v_pk_fma_f16 v34, v80, v37, v34
	v_pk_fma_f16 v31, v81, v37, v31
	v_and_b32_e32 v37, 0xffff, v90
	v_pk_fma_f16 v40, v65, v42, v40
	v_pk_fma_f16 v36, v80, v39, v36
	;; [unrolled: 1-line block ×3, first 2 shown]
	v_lshrrev_b32_e32 v39, 16, v90
	v_mul_u32_u24_e32 v37, 0x10001, v37
	v_mul_u32_u24_e32 v41, 0x10001, v41
	v_mul_u32_u24_e32 v42, 0x10001, v44
	v_pk_fma_f16 v32, v65, v43, v32
	v_mul_u32_u24_e32 v39, 0x10001, v39
	v_pk_fma_f16 v34, v82, v37, v34
	v_pk_fma_f16 v31, v83, v37, v31
	v_and_b32_e32 v37, 0xffff, v92
	v_and_b32_e32 v43, 0xffff, v77
	v_pk_fma_f16 v36, v82, v39, v36
	v_pk_fma_f16 v35, v83, v39, v35
	v_lshrrev_b32_e32 v39, 16, v92
	v_mul_u32_u24_e32 v37, 0x10001, v37
	v_lshrrev_b32_e32 v44, 16, v77
	v_pk_fma_f16 v38, v66, v41, v38
	v_pk_fma_f16 v33, v66, v42, v33
	v_mul_u32_u24_e32 v39, 0x10001, v39
	v_pk_fma_f16 v34, v84, v37, v34
	v_pk_fma_f16 v31, v85, v37, v31
	v_and_b32_e32 v37, 0xffff, v94
	v_pk_fma_f16 v40, v67, v41, v40
	v_pk_fma_f16 v36, v84, v39, v36
	;; [unrolled: 1-line block ×3, first 2 shown]
	v_lshrrev_b32_e32 v39, 16, v94
	v_mul_u32_u24_e32 v37, 0x10001, v37
	v_mul_u32_u24_e32 v41, 0x10001, v43
	;; [unrolled: 1-line block ×3, first 2 shown]
	v_pk_fma_f16 v32, v67, v42, v32
	v_mul_u32_u24_e32 v39, 0x10001, v39
	v_pk_fma_f16 v34, v86, v37, v34
	v_pk_fma_f16 v31, v87, v37, v31
	v_and_b32_e32 v37, 0xffff, v104
	v_and_b32_e32 v42, 0xffff, v79
	v_lshrrev_b32_e32 v44, 16, v79
	v_pk_fma_f16 v36, v86, v39, v36
	v_pk_fma_f16 v35, v87, v39, v35
	v_lshrrev_b32_e32 v39, 16, v104
	v_mul_u32_u24_e32 v37, 0x10001, v37
	v_pk_fma_f16 v38, v68, v41, v38
	v_pk_fma_f16 v33, v68, v43, v33
	v_pk_fma_f16 v40, v69, v41, v40
	v_mul_u32_u24_e32 v41, 0x10001, v42
	v_mul_u32_u24_e32 v42, 0x10001, v44
	v_pk_fma_f16 v32, v69, v43, v32
	v_and_b32_e32 v43, 0xffff, v89
	v_lshrrev_b32_e32 v44, 16, v89
	v_mul_u32_u24_e32 v39, 0x10001, v39
	v_pk_fma_f16 v34, v96, v37, v34
	v_pk_fma_f16 v31, v97, v37, v31
	v_and_b32_e32 v37, 0xffff, v106
	v_pk_fma_f16 v38, v70, v41, v38
	v_pk_fma_f16 v33, v70, v42, v33
	v_pk_fma_f16 v40, v71, v41, v40
	v_mul_u32_u24_e32 v41, 0x10001, v43
	v_mul_u32_u24_e32 v43, 0x10001, v44
	v_pk_fma_f16 v32, v71, v42, v32
	v_and_b32_e32 v42, 0xffff, v91
	v_lshrrev_b32_e32 v44, 16, v91
	v_pk_fma_f16 v36, v96, v39, v36
	v_pk_fma_f16 v35, v97, v39, v35
	v_lshrrev_b32_e32 v39, 16, v106
	v_mul_u32_u24_e32 v37, 0x10001, v37
	v_pk_fma_f16 v38, v80, v41, v38
	v_pk_fma_f16 v33, v80, v43, v33
	v_pk_fma_f16 v40, v81, v41, v40
	v_mul_u32_u24_e32 v41, 0x10001, v42
	v_mul_u32_u24_e32 v42, 0x10001, v44
	v_pk_fma_f16 v32, v81, v43, v32
	v_and_b32_e32 v43, 0xffff, v93
	v_lshrrev_b32_e32 v44, 16, v93
	v_mul_u32_u24_e32 v39, 0x10001, v39
	v_pk_fma_f16 v34, v98, v37, v34
	v_pk_fma_f16 v31, v99, v37, v31
	v_and_b32_e32 v37, 0xffff, v108
	v_pk_fma_f16 v38, v82, v41, v38
	v_pk_fma_f16 v33, v82, v42, v33
	v_pk_fma_f16 v40, v83, v41, v40
	v_mul_u32_u24_e32 v41, 0x10001, v43
	v_mul_u32_u24_e32 v43, 0x10001, v44
	v_pk_fma_f16 v32, v83, v42, v32
	;; [unrolled: 24-line block ×5, first 2 shown]
	v_pk_fma_f16 v36, v112, v39, v36
	v_pk_fma_f16 v35, v113, v39, v35
	v_lshrrev_b32_e32 v39, 16, v122
	v_and_b32_e32 v42, 0xffff, v123
	v_lshrrev_b32_e32 v44, 16, v123
	v_mul_u32_u24_e32 v37, 0x10001, v37
	v_pk_fma_f16 v38, v112, v41, v38
	v_pk_fma_f16 v33, v112, v43, v33
	;; [unrolled: 1-line block ×3, first 2 shown]
	v_mul_u32_u24_e32 v39, 0x10001, v39
	v_mul_u32_u24_e32 v41, 0x10001, v42
	;; [unrolled: 1-line block ×3, first 2 shown]
	v_pk_fma_f16 v32, v113, v43, v32
	v_pk_fma_f16 v34, v114, v37, v34
	;; [unrolled: 1-line block ×3, first 2 shown]
	v_and_b32_e32 v37, 0xffff, v124
	v_and_b32_e32 v43, 0xffff, v125
	v_lshrrev_b32_e32 v44, 16, v125
	v_pk_fma_f16 v36, v114, v39, v36
	v_pk_fma_f16 v38, v114, v41, v38
	;; [unrolled: 1-line block ×4, first 2 shown]
	v_lshrrev_b32_e32 v39, 16, v124
	v_pk_fma_f16 v40, v115, v41, v40
	v_mul_u32_u24_e32 v37, 0x10001, v37
	v_mul_u32_u24_e32 v41, 0x10001, v43
	;; [unrolled: 1-line block ×4, first 2 shown]
	v_pk_fma_f16 v42, v115, v42, v32
	v_pk_fma_f16 v44, v116, v37, v34
	;; [unrolled: 1-line block ×4, first 2 shown]
	s_wait_loadcnt 0x1
	ds_store_b128 v25, v[128:131]
	s_wait_loadcnt 0x0
	ds_store_b128 v26, v[132:135]
	s_wait_dscnt 0x0
	s_barrier_signal -1
	s_barrier_wait -1
	global_inv scope:SCOPE_SE
	ds_load_b128 v[31:34], v24 offset:256
	v_pk_fma_f16 v56, v116, v39, v36
	v_pk_fma_f16 v57, v116, v41, v38
	;; [unrolled: 1-line block ×3, first 2 shown]
	v_and_b32_e32 v35, 0xffff, v126
	v_lshrrev_b32_e32 v36, 16, v126
	v_and_b32_e32 v37, 0xffff, v127
	v_lshrrev_b32_e32 v38, 16, v127
	v_pk_fma_f16 v40, v117, v41, v40
	v_pk_fma_f16 v43, v117, v43, v42
	v_mul_u32_u24_e32 v41, 0x10001, v35
	v_mul_u32_u24_e32 v42, 0x10001, v36
	;; [unrolled: 1-line block ×4, first 2 shown]
	ds_load_2addr_b64 v[35:38], v50 offset1:32
	v_pk_fma_f16 v44, v118, v41, v44
	v_pk_fma_f16 v64, v118, v42, v56
	;; [unrolled: 1-line block ×6, first 2 shown]
	ds_load_b128 v[39:42], v24 offset:272
	s_wait_dscnt 0x2
	v_and_b32_e32 v56, 0xffff, v31
	v_lshrrev_b32_e32 v31, 16, v31
	v_and_b32_e32 v57, 0xffff, v32
	v_lshrrev_b32_e32 v32, 16, v32
	v_pk_fma_f16 v66, v118, v61, v58
	v_mul_u32_u24_e32 v70, 0x10001, v56
	v_mul_u32_u24_e32 v31, 0x10001, v31
	;; [unrolled: 1-line block ×4, first 2 shown]
	v_lshrrev_b32_e32 v32, 16, v33
	v_pk_fma_f16 v43, v119, v61, v43
	ds_load_b128 v[56:59], v24 offset:288
	ds_load_b128 v[60:63], v24 offset:304
	s_wait_dscnt 0x3
	v_pk_fma_f16 v44, v35, v70, v44
	v_pk_fma_f16 v64, v35, v31, v64
	;; [unrolled: 1-line block ×6, first 2 shown]
	v_and_b32_e32 v31, 0xffff, v33
	v_pk_fma_f16 v68, v36, v71, v69
	v_and_b32_e32 v69, 0xffff, v34
	v_lshrrev_b32_e32 v70, 16, v34
	v_mul_u32_u24_e32 v73, 0x10001, v32
	v_mul_u32_u24_e32 v71, 0x10001, v31
	ds_load_2addr_b64 v[31:34], v50 offset0:64 offset1:96
	v_mul_u32_u24_e32 v69, 0x10001, v69
	v_mul_u32_u24_e32 v70, 0x10001, v70
	v_pk_fma_f16 v36, v36, v72, v43
	v_pk_fma_f16 v43, v37, v71, v44
	;; [unrolled: 1-line block ×7, first 2 shown]
	s_wait_dscnt 0x3
	v_and_b32_e32 v66, 0xffff, v39
	v_lshrrev_b32_e32 v39, 16, v39
	v_and_b32_e32 v67, 0xffff, v40
	v_lshrrev_b32_e32 v40, 16, v40
	v_pk_fma_f16 v68, v38, v69, v68
	v_mul_u32_u24_e32 v66, 0x10001, v66
	v_mul_u32_u24_e32 v39, 0x10001, v39
	;; [unrolled: 1-line block ×4, first 2 shown]
	v_pk_fma_f16 v69, v38, v70, v36
	s_wait_dscnt 0x0
	v_pk_fma_f16 v43, v31, v66, v43
	v_pk_fma_f16 v44, v31, v39, v44
	;; [unrolled: 1-line block ×4, first 2 shown]
	v_and_b32_e32 v35, 0xffff, v41
	v_lshrrev_b32_e32 v36, 16, v41
	v_pk_fma_f16 v66, v32, v66, v37
	v_pk_fma_f16 v39, v32, v39, v65
	;; [unrolled: 1-line block ×3, first 2 shown]
	v_and_b32_e32 v65, 0xffff, v42
	v_lshrrev_b32_e32 v42, 16, v42
	v_mul_u32_u24_e32 v67, 0x10001, v35
	v_mul_u32_u24_e32 v68, 0x10001, v36
	ds_load_2addr_b64 v[35:38], v50 offset0:128 offset1:160
	v_mul_u32_u24_e32 v65, 0x10001, v65
	v_mul_u32_u24_e32 v42, 0x10001, v42
	v_pk_fma_f16 v32, v32, v40, v69
	v_pk_fma_f16 v40, v33, v67, v43
	;; [unrolled: 1-line block ×6, first 2 shown]
	v_and_b32_e32 v64, 0xffff, v56
	v_lshrrev_b32_e32 v56, 16, v56
	v_and_b32_e32 v66, 0xffff, v57
	v_lshrrev_b32_e32 v57, 16, v57
	v_pk_fma_f16 v41, v34, v65, v41
	v_mul_u32_u24_e32 v64, 0x10001, v64
	v_mul_u32_u24_e32 v56, 0x10001, v56
	;; [unrolled: 1-line block ×4, first 2 shown]
	v_pk_fma_f16 v39, v34, v68, v39
	v_pk_fma_f16 v42, v34, v42, v32
	s_wait_dscnt 0x0
	v_pk_fma_f16 v40, v35, v64, v40
	v_pk_fma_f16 v43, v35, v56, v43
	v_pk_fma_f16 v44, v35, v65, v44
	v_pk_fma_f16 v35, v35, v57, v31
	v_and_b32_e32 v31, 0xffff, v58
	v_lshrrev_b32_e32 v32, 16, v58
	v_pk_fma_f16 v64, v36, v64, v33
	v_pk_fma_f16 v39, v36, v56, v39
	;; [unrolled: 1-line block ×3, first 2 shown]
	v_and_b32_e32 v56, 0xffff, v59
	v_lshrrev_b32_e32 v58, 16, v59
	v_mul_u32_u24_e32 v59, 0x10001, v31
	v_mul_u32_u24_e32 v65, 0x10001, v32
	ds_load_2addr_b64 v[31:34], v50 offset0:192 offset1:224
	v_mul_u32_u24_e32 v50, 0x10001, v56
	v_mul_u32_u24_e32 v56, 0x10001, v58
	v_pk_fma_f16 v36, v36, v57, v42
	v_pk_fma_f16 v40, v37, v59, v40
	;; [unrolled: 1-line block ×6, first 2 shown]
	v_and_b32_e32 v44, 0xffff, v60
	v_lshrrev_b32_e32 v57, 16, v60
	v_and_b32_e32 v58, 0xffff, v61
	v_lshrrev_b32_e32 v59, 16, v61
	v_pk_fma_f16 v41, v38, v50, v41
	v_mul_u32_u24_e32 v44, 0x10001, v44
	v_mul_u32_u24_e32 v50, 0x10001, v57
	;; [unrolled: 1-line block ×4, first 2 shown]
	v_pk_fma_f16 v39, v38, v65, v39
	v_pk_fma_f16 v56, v38, v56, v36
	s_wait_dscnt 0x0
	v_pk_fma_f16 v59, v31, v44, v40
	v_pk_fma_f16 v60, v31, v50, v42
	;; [unrolled: 1-line block ×5, first 2 shown]
	ds_load_b128 v[35:38], v24 offset:320
	v_pk_fma_f16 v50, v32, v50, v39
	v_and_b32_e32 v39, 0xffff, v62
	v_lshrrev_b32_e32 v40, 16, v62
	v_and_b32_e32 v42, 0xffff, v63
	v_pk_fma_f16 v61, v32, v57, v41
	v_lshrrev_b32_e32 v57, 16, v63
	v_mul_u32_u24_e32 v62, 0x10001, v39
	v_mul_u32_u24_e32 v63, 0x10001, v40
	;; [unrolled: 1-line block ×3, first 2 shown]
	ds_load_2addr_b64 v[39:42], v49 offset1:32
	v_mul_u32_u24_e32 v65, 0x10001, v57
	v_pk_fma_f16 v32, v32, v58, v56
	v_pk_fma_f16 v66, v33, v62, v59
	;; [unrolled: 1-line block ×7, first 2 shown]
	ds_load_b128 v[56:59], v24 offset:336
	s_wait_dscnt 0x2
	v_and_b32_e32 v50, 0xffff, v35
	v_lshrrev_b32_e32 v35, 16, v35
	v_and_b32_e32 v62, 0xffff, v36
	v_lshrrev_b32_e32 v36, 16, v36
	v_pk_fma_f16 v61, v34, v64, v61
	v_mul_u32_u24_e32 v50, 0x10001, v50
	v_mul_u32_u24_e32 v35, 0x10001, v35
	;; [unrolled: 1-line block ×4, first 2 shown]
	v_pk_fma_f16 v63, v34, v65, v32
	s_wait_dscnt 0x1
	v_pk_fma_f16 v64, v39, v50, v66
	v_pk_fma_f16 v60, v39, v35, v60
	;; [unrolled: 1-line block ×4, first 2 shown]
	v_and_b32_e32 v31, 0xffff, v37
	v_lshrrev_b32_e32 v32, 16, v37
	v_pk_fma_f16 v50, v40, v50, v33
	v_pk_fma_f16 v35, v40, v35, v44
	v_pk_fma_f16 v37, v40, v62, v61
	v_and_b32_e32 v44, 0xffff, v38
	v_lshrrev_b32_e32 v38, 16, v38
	v_mul_u32_u24_e32 v61, 0x10001, v31
	v_mul_u32_u24_e32 v62, 0x10001, v32
	ds_load_2addr_b64 v[31:34], v49 offset0:64 offset1:96
	v_mul_u32_u24_e32 v44, 0x10001, v44
	v_mul_u32_u24_e32 v38, 0x10001, v38
	v_pk_fma_f16 v36, v40, v36, v63
	v_pk_fma_f16 v40, v41, v61, v64
	;; [unrolled: 1-line block ×7, first 2 shown]
	s_wait_dscnt 0x1
	v_and_b32_e32 v35, 0xffff, v56
	v_lshrrev_b32_e32 v56, 16, v56
	v_and_b32_e32 v61, 0xffff, v57
	v_lshrrev_b32_e32 v57, 16, v57
	v_pk_fma_f16 v44, v42, v44, v37
	v_mul_u32_u24_e32 v35, 0x10001, v35
	v_mul_u32_u24_e32 v56, 0x10001, v56
	;; [unrolled: 1-line block ×4, first 2 shown]
	v_pk_fma_f16 v62, v42, v38, v36
	s_wait_dscnt 0x0
	v_pk_fma_f16 v63, v31, v35, v40
	v_pk_fma_f16 v64, v32, v35, v41
	ds_load_b128 v[35:38], v24 offset:352
	v_pk_fma_f16 v60, v31, v56, v60
	v_pk_fma_f16 v43, v31, v61, v43
	;; [unrolled: 1-line block ×3, first 2 shown]
	v_and_b32_e32 v39, 0xffff, v58
	v_lshrrev_b32_e32 v40, 16, v58
	v_and_b32_e32 v41, 0xffff, v59
	v_pk_fma_f16 v50, v32, v56, v50
	v_pk_fma_f16 v44, v32, v61, v44
	v_lshrrev_b32_e32 v56, 16, v59
	v_mul_u32_u24_e32 v58, 0x10001, v39
	v_mul_u32_u24_e32 v59, 0x10001, v40
	;; [unrolled: 1-line block ×3, first 2 shown]
	ds_load_2addr_b64 v[39:42], v49 offset0:128 offset1:160
	v_mul_u32_u24_e32 v65, 0x10001, v56
	v_pk_fma_f16 v32, v32, v57, v62
	v_pk_fma_f16 v62, v33, v58, v63
	;; [unrolled: 1-line block ×7, first 2 shown]
	ds_load_b128 v[56:59], v24 offset:368
	s_wait_dscnt 0x2
	v_and_b32_e32 v63, 0xffff, v35
	v_lshrrev_b32_e32 v35, 16, v35
	v_and_b32_e32 v64, 0xffff, v36
	v_lshrrev_b32_e32 v36, 16, v36
	v_pk_fma_f16 v44, v34, v61, v44
	v_mul_u32_u24_e32 v61, 0x10001, v63
	v_mul_u32_u24_e32 v35, 0x10001, v35
	;; [unrolled: 1-line block ×4, first 2 shown]
	v_pk_fma_f16 v64, v34, v65, v32
	s_wait_dscnt 0x1
	v_pk_fma_f16 v62, v39, v61, v62
	v_pk_fma_f16 v60, v39, v35, v60
	;; [unrolled: 1-line block ×4, first 2 shown]
	v_and_b32_e32 v31, 0xffff, v37
	v_lshrrev_b32_e32 v32, 16, v37
	v_pk_fma_f16 v61, v40, v61, v33
	v_pk_fma_f16 v35, v40, v35, v50
	;; [unrolled: 1-line block ×3, first 2 shown]
	v_and_b32_e32 v44, 0xffff, v38
	v_lshrrev_b32_e32 v38, 16, v38
	v_mul_u32_u24_e32 v50, 0x10001, v31
	v_mul_u32_u24_e32 v63, 0x10001, v32
	ds_load_2addr_b64 v[31:34], v49 offset0:192 offset1:224
	v_mul_u32_u24_e32 v44, 0x10001, v44
	v_mul_u32_u24_e32 v38, 0x10001, v38
	v_pk_fma_f16 v36, v40, v36, v64
	v_pk_fma_f16 v40, v41, v50, v62
	;; [unrolled: 1-line block ×7, first 2 shown]
	s_wait_dscnt 0x1
	v_and_b32_e32 v35, 0xffff, v56
	v_lshrrev_b32_e32 v56, 16, v56
	v_and_b32_e32 v60, 0xffff, v57
	v_lshrrev_b32_e32 v57, 16, v57
	v_pk_fma_f16 v44, v42, v44, v37
	v_mul_u32_u24_e32 v35, 0x10001, v35
	v_mul_u32_u24_e32 v56, 0x10001, v56
	;; [unrolled: 1-line block ×4, first 2 shown]
	v_pk_fma_f16 v61, v42, v38, v36
	s_wait_dscnt 0x0
	v_pk_fma_f16 v62, v31, v35, v40
	v_pk_fma_f16 v63, v32, v35, v41
	ds_load_b128 v[35:38], v24 offset:384
	v_pk_fma_f16 v49, v31, v56, v49
	v_pk_fma_f16 v43, v31, v60, v43
	;; [unrolled: 1-line block ×3, first 2 shown]
	v_and_b32_e32 v39, 0xffff, v58
	v_lshrrev_b32_e32 v40, 16, v58
	v_and_b32_e32 v41, 0xffff, v59
	v_pk_fma_f16 v50, v32, v56, v50
	v_pk_fma_f16 v44, v32, v60, v44
	v_lshrrev_b32_e32 v56, 16, v59
	v_mul_u32_u24_e32 v58, 0x10001, v39
	v_mul_u32_u24_e32 v59, 0x10001, v40
	;; [unrolled: 1-line block ×3, first 2 shown]
	ds_load_2addr_b64 v[39:42], v30 offset1:32
	v_mul_u32_u24_e32 v64, 0x10001, v56
	v_pk_fma_f16 v32, v32, v57, v61
	v_pk_fma_f16 v61, v33, v58, v62
	;; [unrolled: 1-line block ×7, first 2 shown]
	ds_load_b128 v[56:59], v24 offset:400
	s_wait_dscnt 0x2
	v_and_b32_e32 v62, 0xffff, v35
	v_lshrrev_b32_e32 v35, 16, v35
	v_and_b32_e32 v63, 0xffff, v36
	v_lshrrev_b32_e32 v36, 16, v36
	v_pk_fma_f16 v44, v34, v60, v44
	v_mul_u32_u24_e32 v60, 0x10001, v62
	v_mul_u32_u24_e32 v35, 0x10001, v35
	;; [unrolled: 1-line block ×4, first 2 shown]
	v_pk_fma_f16 v63, v34, v64, v32
	s_wait_dscnt 0x1
	v_pk_fma_f16 v61, v39, v60, v61
	v_pk_fma_f16 v49, v39, v35, v49
	;; [unrolled: 1-line block ×4, first 2 shown]
	v_and_b32_e32 v31, 0xffff, v37
	v_lshrrev_b32_e32 v32, 16, v37
	v_pk_fma_f16 v60, v40, v60, v33
	v_pk_fma_f16 v35, v40, v35, v50
	;; [unrolled: 1-line block ×3, first 2 shown]
	v_and_b32_e32 v44, 0xffff, v38
	v_lshrrev_b32_e32 v38, 16, v38
	v_mul_u32_u24_e32 v50, 0x10001, v31
	v_mul_u32_u24_e32 v62, 0x10001, v32
	ds_load_2addr_b64 v[31:34], v30 offset0:64 offset1:96
	v_mul_u32_u24_e32 v44, 0x10001, v44
	v_mul_u32_u24_e32 v38, 0x10001, v38
	v_pk_fma_f16 v36, v40, v36, v63
	v_pk_fma_f16 v40, v41, v50, v61
	;; [unrolled: 1-line block ×7, first 2 shown]
	s_wait_dscnt 0x1
	v_and_b32_e32 v35, 0xffff, v56
	v_lshrrev_b32_e32 v56, 16, v56
	v_and_b32_e32 v60, 0xffff, v57
	v_lshrrev_b32_e32 v57, 16, v57
	v_pk_fma_f16 v44, v42, v44, v37
	v_mul_u32_u24_e32 v35, 0x10001, v35
	v_mul_u32_u24_e32 v56, 0x10001, v56
	;; [unrolled: 1-line block ×4, first 2 shown]
	v_pk_fma_f16 v61, v42, v38, v36
	s_wait_dscnt 0x0
	v_pk_fma_f16 v62, v31, v35, v40
	v_pk_fma_f16 v63, v32, v35, v41
	ds_load_b128 v[35:38], v24 offset:416
	v_pk_fma_f16 v49, v31, v56, v49
	v_pk_fma_f16 v43, v31, v60, v43
	;; [unrolled: 1-line block ×3, first 2 shown]
	v_and_b32_e32 v39, 0xffff, v58
	v_lshrrev_b32_e32 v40, 16, v58
	v_and_b32_e32 v41, 0xffff, v59
	v_pk_fma_f16 v50, v32, v56, v50
	v_pk_fma_f16 v44, v32, v60, v44
	v_lshrrev_b32_e32 v56, 16, v59
	v_mul_u32_u24_e32 v58, 0x10001, v39
	v_mul_u32_u24_e32 v59, 0x10001, v40
	;; [unrolled: 1-line block ×3, first 2 shown]
	ds_load_2addr_b64 v[39:42], v30 offset0:128 offset1:160
	v_mul_u32_u24_e32 v64, 0x10001, v56
	v_pk_fma_f16 v32, v32, v57, v61
	v_pk_fma_f16 v61, v33, v58, v62
	;; [unrolled: 1-line block ×7, first 2 shown]
	ds_load_b128 v[56:59], v24 offset:432
	s_wait_dscnt 0x2
	v_and_b32_e32 v62, 0xffff, v35
	v_lshrrev_b32_e32 v35, 16, v35
	v_and_b32_e32 v63, 0xffff, v36
	v_lshrrev_b32_e32 v36, 16, v36
	v_pk_fma_f16 v44, v34, v60, v44
	v_mul_u32_u24_e32 v60, 0x10001, v62
	v_mul_u32_u24_e32 v35, 0x10001, v35
	;; [unrolled: 1-line block ×4, first 2 shown]
	v_pk_fma_f16 v34, v34, v64, v32
	s_wait_dscnt 0x1
	v_pk_fma_f16 v61, v39, v60, v61
	v_pk_fma_f16 v49, v39, v35, v49
	;; [unrolled: 1-line block ×4, first 2 shown]
	v_and_b32_e32 v31, 0xffff, v37
	v_lshrrev_b32_e32 v32, 16, v37
	v_pk_fma_f16 v60, v40, v60, v33
	v_pk_fma_f16 v35, v40, v35, v50
	;; [unrolled: 1-line block ×3, first 2 shown]
	v_mul_u32_u24_e32 v50, 0x10001, v31
	v_mul_u32_u24_e32 v62, 0x10001, v32
	ds_load_2addr_b64 v[30:33], v30 offset0:192 offset1:224
	v_and_b32_e32 v44, 0xffff, v38
	v_lshrrev_b32_e32 v38, 16, v38
	v_pk_fma_f16 v34, v40, v36, v34
	v_pk_fma_f16 v40, v41, v62, v49
	;; [unrolled: 1-line block ×3, first 2 shown]
	v_mul_u32_u24_e32 v44, 0x10001, v44
	v_mul_u32_u24_e32 v38, 0x10001, v38
	s_wait_dscnt 0x1
	v_and_b32_e32 v35, 0xffff, v56
	v_pk_fma_f16 v36, v41, v50, v61
	v_pk_fma_f16 v43, v41, v44, v43
	v_pk_fma_f16 v39, v41, v38, v39
	v_pk_fma_f16 v41, v42, v50, v60
	v_lshrrev_b32_e32 v50, 16, v56
	v_and_b32_e32 v56, 0xffff, v57
	v_lshrrev_b32_e32 v57, 16, v57
	v_mul_u32_u24_e32 v35, 0x10001, v35
	v_pk_fma_f16 v44, v42, v44, v37
	v_mul_u32_u24_e32 v50, 0x10001, v50
	v_mul_u32_u24_e32 v56, 0x10001, v56
	;; [unrolled: 1-line block ×3, first 2 shown]
	v_pk_fma_f16 v42, v42, v38, v34
	s_wait_dscnt 0x0
	v_pk_fma_f16 v60, v30, v35, v36
	v_pk_fma_f16 v62, v31, v35, v41
	ds_load_b128 v[34:37], v24 offset:448
	v_pk_fma_f16 v61, v30, v50, v40
	v_pk_fma_f16 v43, v30, v56, v43
	;; [unrolled: 1-line block ×3, first 2 shown]
	v_and_b32_e32 v38, 0xffff, v58
	v_lshrrev_b32_e32 v39, 16, v58
	v_and_b32_e32 v40, 0xffff, v59
	v_pk_fma_f16 v49, v31, v50, v49
	v_pk_fma_f16 v44, v31, v56, v44
	v_lshrrev_b32_e32 v50, 16, v59
	v_mul_u32_u24_e32 v56, 0x10001, v38
	v_mul_u32_u24_e32 v58, 0x10001, v39
	;; [unrolled: 1-line block ×3, first 2 shown]
	ds_load_2addr_b64 v[38:41], v29 offset1:32
	v_mul_u32_u24_e32 v50, 0x10001, v50
	v_pk_fma_f16 v31, v31, v57, v42
	v_pk_fma_f16 v42, v32, v56, v60
	;; [unrolled: 1-line block ×7, first 2 shown]
	ds_load_b128 v[56:59], v24 offset:464
	s_wait_dscnt 0x2
	v_and_b32_e32 v61, 0xffff, v34
	v_lshrrev_b32_e32 v34, 16, v34
	v_and_b32_e32 v62, 0xffff, v35
	v_lshrrev_b32_e32 v35, 16, v35
	v_pk_fma_f16 v44, v33, v63, v44
	v_mul_u32_u24_e32 v61, 0x10001, v61
	v_mul_u32_u24_e32 v34, 0x10001, v34
	;; [unrolled: 1-line block ×4, first 2 shown]
	v_pk_fma_f16 v50, v33, v50, v31
	s_wait_dscnt 0x1
	v_pk_fma_f16 v42, v38, v61, v42
	v_pk_fma_f16 v60, v38, v34, v60
	;; [unrolled: 1-line block ×4, first 2 shown]
	v_and_b32_e32 v30, 0xffff, v36
	v_lshrrev_b32_e32 v31, 16, v36
	v_pk_fma_f16 v61, v39, v61, v32
	v_pk_fma_f16 v34, v39, v34, v49
	;; [unrolled: 1-line block ×3, first 2 shown]
	v_and_b32_e32 v44, 0xffff, v37
	v_lshrrev_b32_e32 v37, 16, v37
	v_mul_u32_u24_e32 v49, 0x10001, v30
	v_mul_u32_u24_e32 v62, 0x10001, v31
	ds_load_2addr_b64 v[30:33], v29 offset0:64 offset1:96
	v_mul_u32_u24_e32 v44, 0x10001, v44
	v_mul_u32_u24_e32 v37, 0x10001, v37
	v_pk_fma_f16 v35, v39, v35, v50
	v_pk_fma_f16 v39, v40, v49, v42
	v_pk_fma_f16 v42, v40, v62, v60
	v_pk_fma_f16 v43, v40, v44, v43
	v_pk_fma_f16 v38, v40, v37, v38
	v_pk_fma_f16 v40, v41, v49, v61
	v_pk_fma_f16 v49, v41, v62, v34
	s_wait_dscnt 0x1
	v_and_b32_e32 v34, 0xffff, v56
	v_lshrrev_b32_e32 v50, 16, v56
	v_and_b32_e32 v56, 0xffff, v57
	v_lshrrev_b32_e32 v57, 16, v57
	v_pk_fma_f16 v44, v41, v44, v36
	v_mul_u32_u24_e32 v34, 0x10001, v34
	v_mul_u32_u24_e32 v50, 0x10001, v50
	;; [unrolled: 1-line block ×4, first 2 shown]
	v_pk_fma_f16 v60, v41, v37, v35
	s_wait_dscnt 0x0
	v_pk_fma_f16 v61, v30, v34, v39
	v_pk_fma_f16 v62, v31, v34, v40
	ds_load_b128 v[34:37], v24 offset:480
	v_pk_fma_f16 v42, v30, v50, v42
	v_pk_fma_f16 v43, v30, v56, v43
	;; [unrolled: 1-line block ×3, first 2 shown]
	v_and_b32_e32 v38, 0xffff, v58
	v_lshrrev_b32_e32 v39, 16, v58
	v_and_b32_e32 v40, 0xffff, v59
	v_pk_fma_f16 v49, v31, v50, v49
	v_pk_fma_f16 v44, v31, v56, v44
	v_lshrrev_b32_e32 v50, 16, v59
	v_mul_u32_u24_e32 v56, 0x10001, v38
	v_mul_u32_u24_e32 v58, 0x10001, v39
	;; [unrolled: 1-line block ×3, first 2 shown]
	ds_load_2addr_b64 v[38:41], v29 offset0:128 offset1:160
	v_mul_u32_u24_e32 v50, 0x10001, v50
	v_pk_fma_f16 v31, v31, v57, v60
	v_pk_fma_f16 v60, v32, v56, v61
	;; [unrolled: 1-line block ×7, first 2 shown]
	ds_load_b128 v[56:59], v24 offset:496
	s_wait_dscnt 0x2
	v_and_b32_e32 v61, 0xffff, v34
	v_lshrrev_b32_e32 v34, 16, v34
	v_and_b32_e32 v62, 0xffff, v35
	v_lshrrev_b32_e32 v35, 16, v35
	v_pk_fma_f16 v44, v33, v63, v44
	v_mul_u32_u24_e32 v61, 0x10001, v61
	v_mul_u32_u24_e32 v34, 0x10001, v34
	;; [unrolled: 1-line block ×4, first 2 shown]
	v_pk_fma_f16 v31, v33, v50, v31
	s_wait_dscnt 0x1
	v_pk_fma_f16 v33, v38, v61, v60
	v_pk_fma_f16 v42, v38, v34, v42
	;; [unrolled: 1-line block ×5, first 2 shown]
	v_and_b32_e32 v34, 0xffff, v36
	v_lshrrev_b32_e32 v35, 16, v36
	v_pk_fma_f16 v32, v39, v61, v32
	v_and_b32_e32 v49, 0xffff, v37
	v_lshrrev_b32_e32 v50, 16, v37
	v_mul_u32_u24_e32 v60, 0x10001, v34
	v_mul_u32_u24_e32 v61, 0x10001, v35
	ds_load_2addr_b64 v[34:37], v29 offset0:192 offset1:224
	v_mul_u32_u24_e32 v29, 0x10001, v49
	v_mul_u32_u24_e32 v49, 0x10001, v50
	s_wait_loadcnt_dscnt 0x0
	s_barrier_signal -1
	s_barrier_wait -1
	global_inv scope:SCOPE_SE
	s_load_b32 s5, s[20:21], 0x4
	v_pk_fma_f16 v44, v39, v62, v44
	v_pk_fma_f16 v31, v39, v63, v31
	;; [unrolled: 1-line block ×6, first 2 shown]
	v_and_b32_e32 v40, 0xffff, v56
	v_lshrrev_b32_e32 v43, 16, v56
	v_and_b32_e32 v50, 0xffff, v57
	v_lshrrev_b32_e32 v56, 16, v57
	v_pk_fma_f16 v32, v41, v60, v32
	v_pk_fma_f16 v38, v41, v61, v38
	;; [unrolled: 1-line block ×3, first 2 shown]
	v_mul_u32_u24_e32 v40, 0x10001, v40
	v_mul_u32_u24_e32 v43, 0x10001, v43
	v_mul_u32_u24_e32 v44, 0x10001, v50
	v_mul_u32_u24_e32 v50, 0x10001, v56
	v_pk_fma_f16 v31, v41, v49, v31
	v_pk_fma_f16 v33, v34, v40, v33
	v_pk_fma_f16 v39, v34, v43, v39
	v_pk_fma_f16 v41, v34, v44, v42
	v_pk_fma_f16 v42, v34, v50, v30
	v_pk_fma_f16 v40, v35, v40, v32
	v_pk_fma_f16 v38, v35, v43, v38
	v_and_b32_e32 v30, 0xffff, v58
	v_lshrrev_b32_e32 v32, 16, v58
	v_and_b32_e32 v34, 0xffff, v59
	v_lshrrev_b32_e32 v43, 16, v59
	v_pk_fma_f16 v29, v35, v44, v29
	v_mul_u32_u24_e32 v44, 0x10001, v30
	v_mul_u32_u24_e32 v49, 0x10001, v32
	;; [unrolled: 1-line block ×4, first 2 shown]
	v_pk_fma_f16 v50, v35, v50, v31
	s_wait_kmcnt 0x0
	s_lshl_b32 s5, s5, 6
	v_pk_fma_f16 v34, v36, v44, v33
	v_pk_fma_f16 v32, v36, v49, v39
	;; [unrolled: 1-line block ×8, first 2 shown]
	s_wait_alu 0xfffe
	s_add_co_i32 s4, s5, s4
	s_wait_alu 0xfffe
	s_cmp_ge_i32 s4, s30
	s_cbranch_scc1 .LBB21_51
; %bb.50:                               ;   in Loop: Header=BB21_17 Depth=1
	v_dual_mov_b32 v42, v0 :: v_dual_mov_b32 v43, v2
	v_dual_mov_b32 v44, v1 :: v_dual_mov_b32 v41, v3
	;; [unrolled: 1-line block ×4, first 2 shown]
	s_branch .LBB21_17
.LBB21_51:
	v_mov_b32_e32 v5, v19
.LBB21_52:
	v_cmp_lt_i32_e32 vcc_lo, v55, v20
	s_cmp_lg_u64 s[12:13], 0
	s_cselect_b32 s3, -1, 0
	s_cmp_eq_u32 s2, 0
	s_wait_alu 0xfffd
	v_cndmask_b32_e32 v4, v5, v55, vcc_lo
	v_cmp_lt_i32_e32 vcc_lo, v54, v20
	s_cselect_b32 s4, -1, 0
	s_wait_alu 0xfffe
	s_and_b32 s3, s4, s3
	s_wait_alu 0xfffd
	v_cndmask_b32_e32 v9, v5, v54, vcc_lo
	v_cmp_lt_i32_e32 vcc_lo, v53, v20
	s_delay_alu instid0(VALU_DEP_2)
	v_lshlrev_b32_e32 v9, 2, v9
	s_wait_alu 0xfffd
	v_dual_cndmask_b32 v15, v5, v53 :: v_dual_lshlrev_b32 v4, 2, v4
	v_cmp_lt_i32_e32 vcc_lo, v52, v20
	ds_bpermute_b32 v7, v4, v46
	v_lshlrev_b32_e32 v15, 2, v15
	s_wait_dscnt 0x0
	v_add_f32_e32 v7, v46, v7
	ds_bpermute_b32 v6, v4, v45
	ds_bpermute_b32 v8, v4, v47
	ds_bpermute_b32 v4, v4, v48
	ds_bpermute_b32 v11, v9, v7
	s_wait_dscnt 0x3
	v_add_f32_e32 v6, v45, v6
	s_wait_dscnt 0x2
	v_add_f32_e32 v8, v47, v8
	s_wait_dscnt 0x0
	v_dual_add_f32 v4, v48, v4 :: v_dual_add_f32 v7, v7, v11
	ds_bpermute_b32 v10, v9, v6
	ds_bpermute_b32 v14, v9, v8
	;; [unrolled: 1-line block ×3, first 2 shown]
	s_wait_dscnt 0x2
	v_add_f32_e32 v6, v6, v10
	s_wait_dscnt 0x1
	v_add_f32_e32 v8, v8, v14
	;; [unrolled: 2-line block ×3, first 2 shown]
	ds_bpermute_b32 v10, v15, v7
	ds_bpermute_b32 v9, v15, v6
	;; [unrolled: 1-line block ×4, first 2 shown]
	s_wait_alu 0xfffd
	v_cndmask_b32_e32 v15, v5, v52, vcc_lo
	v_cmp_lt_i32_e32 vcc_lo, v51, v20
	s_delay_alu instid0(VALU_DEP_2) | instskip(SKIP_4) | instid1(VALU_DEP_1)
	v_lshlrev_b32_e32 v15, 2, v15
	s_wait_alu 0xfffd
	v_cndmask_b32_e32 v5, v5, v51, vcc_lo
	s_wait_alu 0xfffe
	s_and_b32 vcc_lo, exec_lo, s3
	v_lshlrev_b32_e32 v5, 2, v5
	s_wait_dscnt 0x2
	v_dual_add_f32 v7, v7, v10 :: v_dual_add_f32 v6, v6, v9
	s_wait_dscnt 0x1
	v_add_f32_e32 v8, v8, v11
	s_wait_dscnt 0x0
	v_add_f32_e32 v4, v4, v14
	ds_bpermute_b32 v10, v15, v7
	ds_bpermute_b32 v9, v15, v6
	;; [unrolled: 1-line block ×4, first 2 shown]
	s_wait_dscnt 0x2
	v_dual_add_f32 v7, v7, v10 :: v_dual_add_f32 v6, v6, v9
	s_wait_dscnt 0x0
	v_add_f32_e32 v9, v4, v14
	ds_bpermute_b32 v10, v5, v7
	v_add_f32_e32 v8, v8, v11
	ds_bpermute_b32 v4, v5, v6
	ds_bpermute_b32 v11, v5, v8
	s_wait_dscnt 0x1
	v_add_f32_e32 v4, v6, v4
	ds_bpermute_b32 v14, v5, v9
	s_wait_dscnt 0x1
	v_dual_add_f32 v5, v7, v10 :: v_dual_add_f32 v6, v8, v11
	s_wait_dscnt 0x0
	v_add_f32_e32 v7, v9, v14
	s_wait_alu 0xfffe
	s_cbranch_vccz .LBB21_55
; %bb.53:
	v_dual_max_num_f32 v15, v1, v1 :: v_dual_add_nc_u32 v8, s33, v16
	v_dual_max_num_f32 v14, v0, v0 :: v_dual_max_num_f32 v21, v3, v3
	s_delay_alu instid0(VALU_DEP_2) | instskip(NEXT) | instid1(VALU_DEP_1)
	v_ashrrev_i32_e32 v9, 31, v8
	v_lshlrev_b64_e32 v[8:9], 2, v[8:9]
	s_delay_alu instid0(VALU_DEP_1) | instskip(SKIP_1) | instid1(VALU_DEP_2)
	v_add_co_u32 v8, vcc_lo, s12, v8
	s_wait_alu 0xfffd
	v_add_co_ci_u32_e64 v9, null, s13, v9, vcc_lo
	global_load_b128 v[8:11], v[8:9], off
	s_wait_loadcnt 0x0
	v_dual_max_num_f32 v20, v2, v2 :: v_dual_max_num_f32 v19, v9, v9
	v_dual_max_num_f32 v18, v8, v8 :: v_dual_max_num_f32 v23, v11, v11
	s_delay_alu instid0(VALU_DEP_2) | instskip(NEXT) | instid1(VALU_DEP_2)
	v_dual_max_num_f32 v22, v10, v10 :: v_dual_max_num_f32 v19, v15, v19
	v_dual_max_num_f32 v18, v14, v18 :: v_dual_max_num_f32 v21, v21, v23
	s_delay_alu instid0(VALU_DEP_2) | instskip(NEXT) | instid1(VALU_DEP_2)
	v_dual_max_num_f32 v20, v20, v22 :: v_dual_sub_f32 v15, v1, v19
	v_dual_sub_f32 v14, v0, v18 :: v_dual_sub_f32 v9, v9, v19
	s_delay_alu instid0(VALU_DEP_3) | instskip(NEXT) | instid1(VALU_DEP_3)
	v_dual_sub_f32 v8, v8, v18 :: v_dual_sub_f32 v23, v3, v21
	v_dual_sub_f32 v22, v2, v20 :: v_dual_sub_f32 v11, v11, v21
	v_dual_mov_b32 v0, v18 :: v_dual_mov_b32 v3, v21
	v_dual_sub_f32 v10, v10, v20 :: v_dual_mov_b32 v1, v19
	s_delay_alu instid0(VALU_DEP_4) | instskip(SKIP_1) | instid1(VALU_DEP_3)
	v_dual_mov_b32 v2, v20 :: v_dual_mul_f32 v19, 0x3fb8aa3b, v8
	v_dual_mul_f32 v18, 0x3fb8aa3b, v14 :: v_dual_mul_f32 v21, 0x3fb8aa3b, v9
	v_dual_mul_f32 v20, 0x3fb8aa3b, v15 :: v_dual_mul_f32 v25, 0x3fb8aa3b, v10
	s_delay_alu instid0(VALU_DEP_3) | instskip(NEXT) | instid1(VALU_DEP_3)
	v_fma_f32 v38, 0x3fb8aa3b, v8, -v19
	v_fma_f32 v28, 0x3fb8aa3b, v14, -v18
	v_rndne_f32_e32 v37, v18
	v_rndne_f32_e32 v39, v19
	v_rndne_f32_e32 v43, v21
	v_fma_f32 v42, 0x3fb8aa3b, v9, -v21
	v_fmac_f32_e32 v28, 0x32a5705f, v14
	v_sub_f32_e32 v18, v18, v37
	v_fma_f32 v46, 0x3fb8aa3b, v10, -v25
	v_rndne_f32_e32 v47, v25
	v_dual_fmac_f32 v38, 0x32a5705f, v8 :: v_dual_sub_f32 v19, v19, v39
	s_delay_alu instid0(VALU_DEP_4)
	v_dual_sub_f32 v21, v21, v43 :: v_dual_add_f32 v18, v18, v28
	v_dual_mul_f32 v24, 0x3fb8aa3b, v22 :: v_dual_mul_f32 v27, 0x3fb8aa3b, v11
	v_fma_f32 v40, 0x3fb8aa3b, v15, -v20
	v_rndne_f32_e32 v41, v20
	v_dual_fmac_f32 v46, 0x32a5705f, v10 :: v_dual_sub_f32 v25, v25, v47
	v_dual_mul_f32 v26, 0x3fb8aa3b, v23 :: v_dual_add_f32 v19, v19, v38
	v_exp_f32_e32 v18, v18
	v_rndne_f32_e32 v51, v27
	v_cvt_i32_f32_e32 v37, v37
	v_sub_f32_e32 v20, v20, v41
	v_dual_fmac_f32 v42, 0x32a5705f, v9 :: v_dual_add_f32 v25, v25, v46
	v_fmac_f32_e32 v40, 0x32a5705f, v15
	v_exp_f32_e32 v19, v19
	v_fma_f32 v44, 0x3fb8aa3b, v22, -v24
	v_rndne_f32_e32 v45, v24
	v_fma_f32 v50, 0x3fb8aa3b, v11, -v27
	v_cvt_i32_f32_e32 v39, v39
	v_sub_f32_e32 v27, v27, v51
	v_dual_add_f32 v21, v21, v42 :: v_dual_add_f32 v20, v20, v40
	v_ldexp_f32 v18, v18, v37
	v_cmp_ngt_f32_e32 vcc_lo, 0xc2ce8ed0, v14
	v_fmac_f32_e32 v50, 0x32a5705f, v11
	v_sub_f32_e32 v24, v24, v45
	v_exp_f32_e32 v20, v20
	v_ldexp_f32 v19, v19, v39
	s_wait_alu 0xfffd
	v_cndmask_b32_e32 v18, 0, v18, vcc_lo
	v_cmp_ngt_f32_e32 vcc_lo, 0xc2ce8ed0, v8
	v_fmac_f32_e32 v44, 0x32a5705f, v22
	v_cvt_i32_f32_e32 v41, v41
	v_add_f32_e32 v27, v27, v50
	v_exp_f32_e32 v21, v21
	s_wait_alu 0xfffd
	v_dual_cndmask_b32 v19, 0, v19 :: v_dual_add_f32 v24, v24, v44
	v_cvt_i32_f32_e32 v43, v43
	v_ldexp_f32 v20, v20, v41
	v_cmp_ngt_f32_e32 vcc_lo, 0xc2ce8ed0, v15
	v_cvt_i32_f32_e32 v45, v45
	v_exp_f32_e32 v24, v24
	v_exp_f32_e32 v25, v25
	;; [unrolled: 1-line block ×3, first 2 shown]
	v_ldexp_f32 v21, v21, v43
	s_wait_alu 0xfffd
	v_cndmask_b32_e32 v20, 0, v20, vcc_lo
	v_cmp_ngt_f32_e32 vcc_lo, 0xc2ce8ed0, v9
	v_fma_f32 v48, 0x3fb8aa3b, v23, -v26
	v_rndne_f32_e32 v49, v26
	v_cvt_i32_f32_e32 v47, v47
	v_cvt_i32_f32_e32 v38, v51
	v_ldexp_f32 v24, v24, v45
	s_wait_alu 0xfffd
	v_cndmask_b32_e32 v21, 0, v21, vcc_lo
	v_cmp_ngt_f32_e32 vcc_lo, 0xc2ce8ed0, v22
	v_ldexp_f32 v25, v25, v47
	v_ldexp_f32 v27, v27, v38
	v_sub_f32_e32 v26, v26, v49
	v_cvt_i32_f32_e32 v28, v49
	s_wait_alu 0xfffd
	v_cndmask_b32_e32 v24, 0, v24, vcc_lo
	v_cmp_ngt_f32_e32 vcc_lo, 0xc2ce8ed0, v10
	s_wait_alu 0xfffd
	v_dual_fmac_f32 v48, 0x32a5705f, v23 :: v_dual_cndmask_b32 v25, 0, v25
	s_delay_alu instid0(VALU_DEP_1) | instskip(SKIP_1) | instid1(VALU_DEP_2)
	v_add_f32_e32 v26, v26, v48
	v_cmp_ngt_f32_e32 vcc_lo, 0xc2ce8ed0, v23
	v_exp_f32_e32 v26, v26
	s_delay_alu instid0(TRANS32_DEP_1) | instskip(SKIP_1) | instid1(VALU_DEP_1)
	v_ldexp_f32 v26, v26, v28
	s_wait_alu 0xfffd
	v_cndmask_b32_e32 v26, 0, v26, vcc_lo
	v_cmp_ngt_f32_e32 vcc_lo, 0xc2ce8ed0, v11
	s_wait_alu 0xfffd
	v_cndmask_b32_e32 v27, 0, v27, vcc_lo
	v_cmp_nlt_f32_e32 vcc_lo, 0x42b17218, v14
	s_wait_alu 0xfffd
	v_cndmask_b32_e32 v14, 0x7f800000, v18, vcc_lo
	v_cmp_nlt_f32_e32 vcc_lo, 0x42b17218, v8
	;; [unrolled: 3-line block ×3, first 2 shown]
	s_wait_alu 0xfffd
	s_delay_alu instid0(VALU_DEP_2)
	v_dual_fmac_f32 v8, v4, v14 :: v_dual_cndmask_b32 v15, 0x7f800000, v20
	v_cmp_nlt_f32_e32 vcc_lo, 0x42b17218, v9
	v_cvt_f16_f32_e32 v4, v14
	s_wait_alu 0xfffd
	v_cndmask_b32_e32 v9, 0x7f800000, v21, vcc_lo
	v_cmp_nlt_f32_e32 vcc_lo, 0x42b17218, v22
	s_wait_alu 0xfffd
	s_delay_alu instid0(VALU_DEP_2)
	v_dual_fmac_f32 v9, v5, v15 :: v_dual_cndmask_b32 v18, 0x7f800000, v24
	v_cmp_nlt_f32_e32 vcc_lo, 0x42b17218, v10
	v_cvt_f16_f32_e32 v5, v15
	s_wait_alu 0xfffd
	v_cndmask_b32_e32 v10, 0x7f800000, v25, vcc_lo
	v_cmp_nlt_f32_e32 vcc_lo, 0x42b17218, v23
	s_delay_alu instid0(VALU_DEP_3) | instskip(NEXT) | instid1(VALU_DEP_3)
	v_and_b32_e32 v15, 0xffff, v5
	v_dual_mov_b32 v5, v9 :: v_dual_fmac_f32 v10, v6, v18
	s_wait_alu 0xfffd
	v_cndmask_b32_e32 v19, 0x7f800000, v26, vcc_lo
	v_cmp_nlt_f32_e32 vcc_lo, 0x42b17218, v11
	v_cvt_f16_f32_e32 v6, v18
	v_mul_u32_u24_e32 v15, 0x10001, v15
	s_delay_alu instid0(VALU_DEP_4)
	v_cvt_f16_f32_e32 v14, v19
	s_wait_alu 0xfffd
	v_cndmask_b32_e32 v11, 0x7f800000, v27, vcc_lo
	v_and_b32_e32 v18, 0xffff, v6
	v_mov_b32_e32 v6, v10
	v_pk_mul_f16 v32, v32, v15
	s_delay_alu instid0(VALU_DEP_4) | instskip(SKIP_3) | instid1(VALU_DEP_4)
	v_dual_fmac_f32 v11, v7, v19 :: v_dual_and_b32 v14, 0xffff, v14
	v_and_b32_e32 v7, 0xffff, v4
	v_mul_u32_u24_e32 v18, 0x10001, v18
	v_mov_b32_e32 v4, v8
	v_mul_u32_u24_e32 v14, 0x10001, v14
	v_pk_mul_f16 v35, v35, v15
	v_mul_u32_u24_e32 v7, 0x10001, v7
	v_pk_mul_f16 v30, v30, v18
	v_pk_mul_f16 v33, v33, v18
	v_pk_mul_f16 v31, v31, v14
	v_pk_mul_f16 v29, v29, v14
	v_pk_mul_f16 v34, v34, v7
	v_pk_mul_f16 v36, v36, v7
	v_mov_b32_e32 v7, v11
	s_mov_b32 s3, exec_lo
	v_cmpx_gt_i32_e64 s22, v12
	s_cbranch_execnz .LBB21_56
.LBB21_54:
	s_nop 0
	s_sendmsg sendmsg(MSG_DEALLOC_VGPRS)
	s_endpgm
.LBB21_55:
	s_delay_alu instid0(VALU_DEP_1)
	v_dual_mov_b32 v11, v7 :: v_dual_mov_b32 v10, v6
	v_dual_mov_b32 v9, v5 :: v_dual_mov_b32 v8, v4
	s_mov_b32 s3, exec_lo
	v_cmpx_gt_i32_e64 s22, v12
	s_cbranch_execz .LBB21_54
.LBB21_56:
	s_load_b32 s1, s[0:1], 0xd4
	v_mov_b32_e32 v18, 1.0
	s_wait_kmcnt 0x0
	s_cmp_lg_u32 s1, 1
	s_cselect_b32 s4, -1, 0
	s_cmp_eq_u32 s1, 1
	s_cselect_b32 s3, -1, 0
	s_wait_alu 0xfffe
	s_and_b32 vcc_lo, exec_lo, s4
	s_wait_alu 0xfffe
	s_cbranch_vccnz .LBB21_58
; %bb.57:
	v_div_scale_f32 v14, null, v4, v4, 1.0
	s_delay_alu instid0(VALU_DEP_1) | instskip(NEXT) | instid1(TRANS32_DEP_1)
	v_rcp_f32_e32 v15, v14
	v_fma_f32 v18, -v14, v15, 1.0
	s_delay_alu instid0(VALU_DEP_1) | instskip(SKIP_1) | instid1(VALU_DEP_1)
	v_fmac_f32_e32 v15, v18, v15
	v_div_scale_f32 v18, vcc_lo, 1.0, v4, 1.0
	v_mul_f32_e32 v19, v18, v15
	s_delay_alu instid0(VALU_DEP_1) | instskip(NEXT) | instid1(VALU_DEP_1)
	v_fma_f32 v20, -v14, v19, v18
	v_fmac_f32_e32 v19, v20, v15
	s_delay_alu instid0(VALU_DEP_1) | instskip(SKIP_1) | instid1(VALU_DEP_1)
	v_fma_f32 v14, -v14, v19, v18
	s_wait_alu 0xfffd
	v_div_fmas_f32 v14, v14, v15, v19
	s_delay_alu instid0(VALU_DEP_1)
	v_div_fixup_f32 v18, v14, v4, 1.0
.LBB21_58:
	v_mad_co_u64_u32 v[14:15], null, s28, s22, v[12:13]
	v_cmp_eq_u32_e32 vcc_lo, 0, v13
	v_cvt_f32_f16_e32 v20, v36
	s_delay_alu instid0(VALU_DEP_1) | instskip(NEXT) | instid1(VALU_DEP_4)
	v_mul_f32_e32 v21, v18, v20
	v_mul_lo_u32 v4, v14, s23
	s_delay_alu instid0(VALU_DEP_1) | instskip(SKIP_1) | instid1(VALU_DEP_2)
	v_add3_u32 v4, s33, v16, v4
	v_cvt_f32_f16_e32 v16, v34
	v_mad_co_u64_u32 v[14:15], null, s1, v4, s[2:3]
	v_lshrrev_b32_e32 v4, 16, v34
	v_lshrrev_b32_e32 v15, 16, v36
	s_delay_alu instid0(VALU_DEP_4) | instskip(NEXT) | instid1(VALU_DEP_3)
	v_mul_f32_e32 v19, v18, v16
	v_cvt_f32_f16_e32 v4, v4
	v_mov_b32_e32 v13, 0
	v_lshl_add_u32 v12, v14, 7, v17
	v_cvt_f32_f16_e32 v15, v15
	s_delay_alu instid0(VALU_DEP_4) | instskip(NEXT) | instid1(VALU_DEP_3)
	v_mul_f32_e32 v20, v18, v4
	v_lshlrev_b64_e32 v[12:13], 2, v[12:13]
	s_delay_alu instid0(VALU_DEP_3) | instskip(NEXT) | instid1(VALU_DEP_2)
	v_mul_f32_e32 v22, v18, v15
	v_add_co_u32 v12, s0, s16, v12
	s_wait_alu 0xf1ff
	s_delay_alu instid0(VALU_DEP_3)
	v_add_co_ci_u32_e64 v13, null, s17, v13, s0
	s_and_b32 s0, vcc_lo, s4
	global_store_b128 v[12:13], v[19:22], off
	s_wait_alu 0xfffe
	s_and_saveexec_b32 s2, s0
	s_cbranch_execz .LBB21_60
; %bb.59:
	v_ashrrev_i32_e32 v15, 31, v14
	v_mov_b32_e32 v16, v8
	s_delay_alu instid0(VALU_DEP_2) | instskip(SKIP_1) | instid1(VALU_DEP_2)
	v_lshlrev_b64_e32 v[12:13], 3, v[14:15]
	v_mov_b32_e32 v15, v0
	v_add_co_u32 v12, vcc_lo, s18, v12
	s_wait_alu 0xfffd
	s_delay_alu instid0(VALU_DEP_3)
	v_add_co_ci_u32_e64 v13, null, s19, v13, vcc_lo
	global_store_b64 v[12:13], v[15:16], off
.LBB21_60:
	s_wait_alu 0xfffe
	s_or_b32 exec_lo, exec_lo, s2
	v_cndmask_b32_e64 v12, 0, 1, s3
	v_mov_b32_e32 v0, 1.0
	s_and_not1_b32 vcc_lo, exec_lo, s3
	s_wait_alu 0xfffe
	s_cbranch_vccnz .LBB21_62
; %bb.61:
	v_div_scale_f32 v0, null, v5, v5, 1.0
	s_delay_alu instid0(VALU_DEP_1) | instskip(NEXT) | instid1(TRANS32_DEP_1)
	v_rcp_f32_e32 v4, v0
	v_fma_f32 v8, -v0, v4, 1.0
	s_delay_alu instid0(VALU_DEP_1) | instskip(SKIP_1) | instid1(VALU_DEP_1)
	v_fmac_f32_e32 v4, v8, v4
	v_div_scale_f32 v8, vcc_lo, 1.0, v5, 1.0
	v_mul_f32_e32 v13, v8, v4
	s_delay_alu instid0(VALU_DEP_1) | instskip(NEXT) | instid1(VALU_DEP_1)
	v_fma_f32 v15, -v0, v13, v8
	v_fmac_f32_e32 v13, v15, v4
	s_delay_alu instid0(VALU_DEP_1) | instskip(SKIP_1) | instid1(VALU_DEP_1)
	v_fma_f32 v0, -v0, v13, v8
	s_wait_alu 0xfffd
	v_div_fmas_f32 v0, v0, v4, v13
	s_delay_alu instid0(VALU_DEP_1)
	v_div_fixup_f32 v0, v0, v5, 1.0
.LBB21_62:
	v_cvt_f32_f16_e32 v15, v32
	v_add_nc_u32_e32 v4, s1, v14
	v_cvt_f32_f16_e32 v16, v35
	v_mov_b32_e32 v14, 0
	v_lshrrev_b32_e32 v5, 16, v32
	v_lshrrev_b32_e32 v8, 16, v35
	v_lshl_add_u32 v13, v4, 7, v17
	s_delay_alu instid0(VALU_DEP_3) | instskip(NEXT) | instid1(VALU_DEP_3)
	v_cvt_f32_f16_e32 v5, v5
	v_cvt_f32_f16_e32 v8, v8
	s_delay_alu instid0(VALU_DEP_3)
	v_lshlrev_b64_e32 v[18:19], 2, v[13:14]
	v_mul_f32_e32 v13, v0, v15
	v_mul_f32_e32 v15, v0, v16
	;; [unrolled: 1-line block ×4, first 2 shown]
	v_add_co_u32 v18, vcc_lo, s16, v18
	s_wait_alu 0xfffd
	v_add_co_ci_u32_e64 v19, null, s17, v19, vcc_lo
	global_store_b128 v[18:19], v[13:16], off
	s_and_saveexec_b32 s2, s0
	s_cbranch_execz .LBB21_64
; %bb.63:
	v_ashrrev_i32_e32 v5, 31, v4
	v_mov_b32_e32 v8, v1
	s_delay_alu instid0(VALU_DEP_2) | instskip(NEXT) | instid1(VALU_DEP_1)
	v_lshlrev_b64_e32 v[13:14], 3, v[4:5]
	v_add_co_u32 v13, vcc_lo, s18, v13
	s_wait_alu 0xfffd
	s_delay_alu instid0(VALU_DEP_2)
	v_add_co_ci_u32_e64 v14, null, s19, v14, vcc_lo
	global_store_b64 v[13:14], v[8:9], off
.LBB21_64:
	s_wait_alu 0xfffe
	s_or_b32 exec_lo, exec_lo, s2
	v_cmp_ne_u32_e32 vcc_lo, 1, v12
	v_mov_b32_e32 v1, 1.0
	s_cbranch_vccnz .LBB21_66
; %bb.65:
	v_div_scale_f32 v0, null, v6, v6, 1.0
	s_delay_alu instid0(VALU_DEP_1) | instskip(NEXT) | instid1(TRANS32_DEP_1)
	v_rcp_f32_e32 v1, v0
	v_fma_f32 v5, -v0, v1, 1.0
	s_delay_alu instid0(VALU_DEP_1) | instskip(SKIP_1) | instid1(VALU_DEP_1)
	v_fmac_f32_e32 v1, v5, v1
	v_div_scale_f32 v5, vcc_lo, 1.0, v6, 1.0
	v_mul_f32_e32 v8, v5, v1
	s_delay_alu instid0(VALU_DEP_1) | instskip(NEXT) | instid1(VALU_DEP_1)
	v_fma_f32 v9, -v0, v8, v5
	v_fmac_f32_e32 v8, v9, v1
	s_delay_alu instid0(VALU_DEP_1) | instskip(SKIP_1) | instid1(VALU_DEP_1)
	v_fma_f32 v0, -v0, v8, v5
	s_wait_alu 0xfffd
	v_div_fmas_f32 v0, v0, v1, v8
	s_delay_alu instid0(VALU_DEP_1)
	v_div_fixup_f32 v1, v0, v6, 1.0
.LBB21_66:
	v_dual_mov_b32 v5, 0 :: v_dual_add_nc_u32 v0, s1, v4
	v_lshrrev_b32_e32 v6, 16, v30
	v_lshrrev_b32_e32 v8, 16, v33
	v_cvt_f32_f16_e32 v9, v30
	s_delay_alu instid0(VALU_DEP_4)
	v_lshl_add_u32 v4, v0, 7, v17
	v_cvt_f32_f16_e32 v14, v33
	v_cvt_f32_f16_e32 v6, v6
	;; [unrolled: 1-line block ×3, first 2 shown]
	v_mul_f32_e32 v13, v1, v9
	v_lshlrev_b64_e32 v[4:5], 2, v[4:5]
	v_mul_f32_e32 v15, v1, v14
	v_mul_f32_e32 v14, v1, v6
	;; [unrolled: 1-line block ×3, first 2 shown]
	s_delay_alu instid0(VALU_DEP_4)
	v_add_co_u32 v4, vcc_lo, s16, v4
	s_wait_alu 0xfffd
	v_add_co_ci_u32_e64 v5, null, s17, v5, vcc_lo
	global_store_b128 v[4:5], v[13:16], off
	s_and_saveexec_b32 s2, s0
	s_cbranch_execz .LBB21_68
; %bb.67:
	v_ashrrev_i32_e32 v1, 31, v0
	v_mov_b32_e32 v9, v2
	s_delay_alu instid0(VALU_DEP_2) | instskip(NEXT) | instid1(VALU_DEP_1)
	v_lshlrev_b64_e32 v[4:5], 3, v[0:1]
	v_add_co_u32 v4, vcc_lo, s18, v4
	s_wait_alu 0xfffd
	s_delay_alu instid0(VALU_DEP_2)
	v_add_co_ci_u32_e64 v5, null, s19, v5, vcc_lo
	global_store_b64 v[4:5], v[9:10], off
.LBB21_68:
	s_wait_alu 0xfffe
	s_or_b32 exec_lo, exec_lo, s2
	v_cmp_ne_u32_e32 vcc_lo, 1, v12
	v_mov_b32_e32 v1, 1.0
	s_cbranch_vccnz .LBB21_70
; %bb.69:
	v_div_scale_f32 v1, null, v7, v7, 1.0
	s_delay_alu instid0(VALU_DEP_1) | instskip(NEXT) | instid1(TRANS32_DEP_1)
	v_rcp_f32_e32 v2, v1
	v_fma_f32 v4, -v1, v2, 1.0
	s_delay_alu instid0(VALU_DEP_1) | instskip(SKIP_1) | instid1(VALU_DEP_1)
	v_fmac_f32_e32 v2, v4, v2
	v_div_scale_f32 v4, vcc_lo, 1.0, v7, 1.0
	v_mul_f32_e32 v5, v4, v2
	s_delay_alu instid0(VALU_DEP_1) | instskip(NEXT) | instid1(VALU_DEP_1)
	v_fma_f32 v6, -v1, v5, v4
	v_fmac_f32_e32 v5, v6, v2
	s_delay_alu instid0(VALU_DEP_1) | instskip(SKIP_1) | instid1(VALU_DEP_1)
	v_fma_f32 v1, -v1, v5, v4
	s_wait_alu 0xfffd
	v_div_fmas_f32 v1, v1, v2, v5
	s_delay_alu instid0(VALU_DEP_1)
	v_div_fixup_f32 v1, v1, v7, 1.0
.LBB21_70:
	v_dual_mov_b32 v5, 0 :: v_dual_add_nc_u32 v0, s1, v0
	v_lshrrev_b32_e32 v2, 16, v31
	v_lshrrev_b32_e32 v6, 16, v29
	v_cvt_f32_f16_e32 v7, v31
	s_delay_alu instid0(VALU_DEP_4) | instskip(SKIP_3) | instid1(VALU_DEP_4)
	v_lshl_add_u32 v4, v0, 7, v17
	v_cvt_f32_f16_e32 v10, v29
	v_cvt_f32_f16_e32 v2, v2
	;; [unrolled: 1-line block ×3, first 2 shown]
	v_lshlrev_b64_e32 v[8:9], 2, v[4:5]
	v_mul_f32_e32 v4, v1, v7
	v_mul_f32_e32 v6, v1, v10
	;; [unrolled: 1-line block ×4, first 2 shown]
	v_add_co_u32 v1, vcc_lo, s16, v8
	s_wait_alu 0xfffd
	v_add_co_ci_u32_e64 v2, null, s17, v9, vcc_lo
	global_store_b128 v[1:2], v[4:7], off
	s_and_b32 exec_lo, exec_lo, s0
	s_cbranch_execz .LBB21_54
; %bb.71:
	v_ashrrev_i32_e32 v1, 31, v0
	v_mov_b32_e32 v10, v3
	s_delay_alu instid0(VALU_DEP_2) | instskip(NEXT) | instid1(VALU_DEP_1)
	v_lshlrev_b64_e32 v[0:1], 3, v[0:1]
	v_add_co_u32 v0, vcc_lo, s18, v0
	s_wait_alu 0xfffd
	s_delay_alu instid0(VALU_DEP_2)
	v_add_co_ci_u32_e64 v1, null, s19, v1, vcc_lo
	global_store_b64 v[0:1], v[10:11], off
	s_nop 0
	s_sendmsg sendmsg(MSG_DEALLOC_VGPRS)
	s_endpgm
	.section	.rodata,"a",@progbits
	.p2align	6, 0x0
	.amdhsa_kernel _ZL15flash_attn_tileILi192ELi128ELi4ELi8ELb1EEvPKcS1_S1_S1_S1_PKiPfP15HIP_vector_typeIfLj2EEffffjfiS5_IjLj3EEiiiiiiiiiiiliiliiiiil
		.amdhsa_group_segment_fixed_size 25600
		.amdhsa_private_segment_fixed_size 0
		.amdhsa_kernarg_size 464
		.amdhsa_user_sgpr_count 2
		.amdhsa_user_sgpr_dispatch_ptr 0
		.amdhsa_user_sgpr_queue_ptr 0
		.amdhsa_user_sgpr_kernarg_segment_ptr 1
		.amdhsa_user_sgpr_dispatch_id 0
		.amdhsa_user_sgpr_private_segment_size 0
		.amdhsa_wavefront_size32 1
		.amdhsa_uses_dynamic_stack 0
		.amdhsa_enable_private_segment 0
		.amdhsa_system_sgpr_workgroup_id_x 1
		.amdhsa_system_sgpr_workgroup_id_y 1
		.amdhsa_system_sgpr_workgroup_id_z 1
		.amdhsa_system_sgpr_workgroup_info 0
		.amdhsa_system_vgpr_workitem_id 1
		.amdhsa_next_free_vgpr 147
		.amdhsa_next_free_sgpr 43
		.amdhsa_reserve_vcc 1
		.amdhsa_float_round_mode_32 0
		.amdhsa_float_round_mode_16_64 0
		.amdhsa_float_denorm_mode_32 3
		.amdhsa_float_denorm_mode_16_64 3
		.amdhsa_fp16_overflow 0
		.amdhsa_workgroup_processor_mode 1
		.amdhsa_memory_ordered 1
		.amdhsa_forward_progress 1
		.amdhsa_inst_pref_size 165
		.amdhsa_round_robin_scheduling 0
		.amdhsa_exception_fp_ieee_invalid_op 0
		.amdhsa_exception_fp_denorm_src 0
		.amdhsa_exception_fp_ieee_div_zero 0
		.amdhsa_exception_fp_ieee_overflow 0
		.amdhsa_exception_fp_ieee_underflow 0
		.amdhsa_exception_fp_ieee_inexact 0
		.amdhsa_exception_int_div_zero 0
	.end_amdhsa_kernel
	.section	.text._ZL15flash_attn_tileILi192ELi128ELi4ELi8ELb1EEvPKcS1_S1_S1_S1_PKiPfP15HIP_vector_typeIfLj2EEffffjfiS5_IjLj3EEiiiiiiiiiiiliiliiiiil,"axG",@progbits,_ZL15flash_attn_tileILi192ELi128ELi4ELi8ELb1EEvPKcS1_S1_S1_S1_PKiPfP15HIP_vector_typeIfLj2EEffffjfiS5_IjLj3EEiiiiiiiiiiiliiliiiiil,comdat
.Lfunc_end21:
	.size	_ZL15flash_attn_tileILi192ELi128ELi4ELi8ELb1EEvPKcS1_S1_S1_S1_PKiPfP15HIP_vector_typeIfLj2EEffffjfiS5_IjLj3EEiiiiiiiiiiiliiliiiiil, .Lfunc_end21-_ZL15flash_attn_tileILi192ELi128ELi4ELi8ELb1EEvPKcS1_S1_S1_S1_PKiPfP15HIP_vector_typeIfLj2EEffffjfiS5_IjLj3EEiiiiiiiiiiiliiliiiiil
                                        ; -- End function
	.set _ZL15flash_attn_tileILi192ELi128ELi4ELi8ELb1EEvPKcS1_S1_S1_S1_PKiPfP15HIP_vector_typeIfLj2EEffffjfiS5_IjLj3EEiiiiiiiiiiiliiliiiiil.num_vgpr, 147
	.set _ZL15flash_attn_tileILi192ELi128ELi4ELi8ELb1EEvPKcS1_S1_S1_S1_PKiPfP15HIP_vector_typeIfLj2EEffffjfiS5_IjLj3EEiiiiiiiiiiiliiliiiiil.num_agpr, 0
	.set _ZL15flash_attn_tileILi192ELi128ELi4ELi8ELb1EEvPKcS1_S1_S1_S1_PKiPfP15HIP_vector_typeIfLj2EEffffjfiS5_IjLj3EEiiiiiiiiiiiliiliiiiil.numbered_sgpr, 43
	.set _ZL15flash_attn_tileILi192ELi128ELi4ELi8ELb1EEvPKcS1_S1_S1_S1_PKiPfP15HIP_vector_typeIfLj2EEffffjfiS5_IjLj3EEiiiiiiiiiiiliiliiiiil.num_named_barrier, 0
	.set _ZL15flash_attn_tileILi192ELi128ELi4ELi8ELb1EEvPKcS1_S1_S1_S1_PKiPfP15HIP_vector_typeIfLj2EEffffjfiS5_IjLj3EEiiiiiiiiiiiliiliiiiil.private_seg_size, 0
	.set _ZL15flash_attn_tileILi192ELi128ELi4ELi8ELb1EEvPKcS1_S1_S1_S1_PKiPfP15HIP_vector_typeIfLj2EEffffjfiS5_IjLj3EEiiiiiiiiiiiliiliiiiil.uses_vcc, 1
	.set _ZL15flash_attn_tileILi192ELi128ELi4ELi8ELb1EEvPKcS1_S1_S1_S1_PKiPfP15HIP_vector_typeIfLj2EEffffjfiS5_IjLj3EEiiiiiiiiiiiliiliiiiil.uses_flat_scratch, 0
	.set _ZL15flash_attn_tileILi192ELi128ELi4ELi8ELb1EEvPKcS1_S1_S1_S1_PKiPfP15HIP_vector_typeIfLj2EEffffjfiS5_IjLj3EEiiiiiiiiiiiliiliiiiil.has_dyn_sized_stack, 0
	.set _ZL15flash_attn_tileILi192ELi128ELi4ELi8ELb1EEvPKcS1_S1_S1_S1_PKiPfP15HIP_vector_typeIfLj2EEffffjfiS5_IjLj3EEiiiiiiiiiiiliiliiiiil.has_recursion, 0
	.set _ZL15flash_attn_tileILi192ELi128ELi4ELi8ELb1EEvPKcS1_S1_S1_S1_PKiPfP15HIP_vector_typeIfLj2EEffffjfiS5_IjLj3EEiiiiiiiiiiiliiliiiiil.has_indirect_call, 0
	.section	.AMDGPU.csdata,"",@progbits
; Kernel info:
; codeLenInByte = 21064
; TotalNumSgprs: 45
; NumVgprs: 147
; ScratchSize: 0
; MemoryBound: 0
; FloatMode: 240
; IeeeMode: 1
; LDSByteSize: 25600 bytes/workgroup (compile time only)
; SGPRBlocks: 0
; VGPRBlocks: 18
; NumSGPRsForWavesPerEU: 45
; NumVGPRsForWavesPerEU: 147
; Occupancy: 9
; WaveLimiterHint : 1
; COMPUTE_PGM_RSRC2:SCRATCH_EN: 0
; COMPUTE_PGM_RSRC2:USER_SGPR: 2
; COMPUTE_PGM_RSRC2:TRAP_HANDLER: 0
; COMPUTE_PGM_RSRC2:TGID_X_EN: 1
; COMPUTE_PGM_RSRC2:TGID_Y_EN: 1
; COMPUTE_PGM_RSRC2:TGID_Z_EN: 1
; COMPUTE_PGM_RSRC2:TIDIG_COMP_CNT: 1
	.section	.text._ZL15flash_attn_tileILi192ELi128ELi2ELi8ELb1EEvPKcS1_S1_S1_S1_PKiPfP15HIP_vector_typeIfLj2EEffffjfiS5_IjLj3EEiiiiiiiiiiiliiliiiiil,"axG",@progbits,_ZL15flash_attn_tileILi192ELi128ELi2ELi8ELb1EEvPKcS1_S1_S1_S1_PKiPfP15HIP_vector_typeIfLj2EEffffjfiS5_IjLj3EEiiiiiiiiiiiliiliiiiil,comdat
	.globl	_ZL15flash_attn_tileILi192ELi128ELi2ELi8ELb1EEvPKcS1_S1_S1_S1_PKiPfP15HIP_vector_typeIfLj2EEffffjfiS5_IjLj3EEiiiiiiiiiiiliiliiiiil ; -- Begin function _ZL15flash_attn_tileILi192ELi128ELi2ELi8ELb1EEvPKcS1_S1_S1_S1_PKiPfP15HIP_vector_typeIfLj2EEffffjfiS5_IjLj3EEiiiiiiiiiiiliiliiiiil
	.p2align	8
	.type	_ZL15flash_attn_tileILi192ELi128ELi2ELi8ELb1EEvPKcS1_S1_S1_S1_PKiPfP15HIP_vector_typeIfLj2EEffffjfiS5_IjLj3EEiiiiiiiiiiiliiliiiiil,@function
_ZL15flash_attn_tileILi192ELi128ELi2ELi8ELb1EEvPKcS1_S1_S1_S1_PKiPfP15HIP_vector_typeIfLj2EEffffjfiS5_IjLj3EEiiiiiiiiiiiliiliiiiil: ; @_ZL15flash_attn_tileILi192ELi128ELi2ELi8ELb1EEvPKcS1_S1_S1_S1_PKiPfP15HIP_vector_typeIfLj2EEffffjfiS5_IjLj3EEiiiiiiiiiiiliiliiiiil
; %bb.0:
	s_clause 0x1
	s_load_b128 s[20:23], s[0:1], 0x5c
	s_load_b64 s[30:31], s[0:1], 0x80
	s_lshr_b32 s5, ttmp7, 16
	s_mov_b32 s37, 0
	s_mov_b64 s[34:35], 0
	s_wait_kmcnt 0x0
	s_ashr_i32 s2, s23, 31
	s_delay_alu instid0(SALU_CYCLE_1) | instskip(NEXT) | instid1(SALU_CYCLE_1)
	s_lshr_b32 s2, s2, 29
	s_add_co_i32 s2, s23, s2
	s_delay_alu instid0(SALU_CYCLE_1) | instskip(NEXT) | instid1(SALU_CYCLE_1)
	s_ashr_i32 s2, s2, 3
	s_cvt_f32_u32 s3, s2
	s_sub_co_i32 s4, 0, s2
	s_delay_alu instid0(SALU_CYCLE_2) | instskip(NEXT) | instid1(TRANS32_DEP_1)
	v_rcp_iflag_f32_e32 v1, s3
	v_readfirstlane_b32 s3, v1
	s_mul_f32 s3, s3, 0x4f7ffffe
	s_wait_alu 0xfffe
	s_delay_alu instid0(SALU_CYCLE_2) | instskip(SKIP_1) | instid1(SALU_CYCLE_2)
	s_cvt_u32_f32 s3, s3
	s_wait_alu 0xfffe
	s_mul_i32 s4, s4, s3
	s_delay_alu instid0(SALU_CYCLE_1) | instskip(NEXT) | instid1(SALU_CYCLE_1)
	s_mul_hi_u32 s4, s3, s4
	s_add_co_i32 s3, s3, s4
	s_wait_alu 0xfffe
	s_mul_hi_u32 s3, s5, s3
	s_wait_alu 0xfffe
	s_mul_i32 s4, s3, s2
	s_add_co_i32 s6, s3, 1
	s_sub_co_i32 s4, s5, s4
	s_delay_alu instid0(SALU_CYCLE_1)
	s_sub_co_i32 s7, s4, s2
	s_cmp_ge_u32 s4, s2
	s_cselect_b32 s3, s6, s3
	s_cselect_b32 s4, s7, s4
	s_wait_alu 0xfffe
	s_add_co_i32 s6, s3, 1
	s_cmp_ge_u32 s4, s2
	s_cselect_b32 s28, s6, s3
	s_abs_i32 s2, s31
	s_abs_i32 s7, s23
	s_wait_alu 0xfffe
	s_cvt_f32_u32 s3, s2
	s_sub_co_i32 s4, 0, s2
	s_lshl_b32 s5, s5, 3
	s_mul_i32 s6, s28, s23
	s_wait_alu 0xfffe
	v_rcp_iflag_f32_e32 v1, s3
	s_sub_co_i32 s33, s5, s6
	s_delay_alu instid0(TRANS32_DEP_1) | instskip(SKIP_2) | instid1(SALU_CYCLE_2)
	v_readfirstlane_b32 s3, v1
	s_mul_f32 s3, s3, 0x4f7ffffe
	s_wait_alu 0xfffe
	s_cvt_u32_f32 s3, s3
	s_wait_alu 0xfffe
	s_delay_alu instid0(SALU_CYCLE_2) | instskip(NEXT) | instid1(SALU_CYCLE_1)
	s_mul_i32 s4, s4, s3
	s_mul_hi_u32 s4, s3, s4
	s_delay_alu instid0(SALU_CYCLE_1)
	s_add_co_i32 s3, s3, s4
	s_xor_b32 s4, s23, s31
	s_wait_alu 0xfffe
	s_mul_hi_u32 s3, s7, s3
	s_ashr_i32 s24, s4, 31
	s_wait_alu 0xfffe
	s_mul_i32 s5, s3, s2
	s_delay_alu instid0(SALU_CYCLE_1)
	s_sub_co_i32 s4, s7, s5
	s_add_co_i32 s5, s3, 1
	s_sub_co_i32 s6, s4, s2
	s_cmp_ge_u32 s4, s2
	s_cselect_b32 s3, s5, s3
	s_cselect_b32 s4, s6, s4
	s_wait_alu 0xfffe
	s_add_co_i32 s5, s3, 1
	s_cmp_ge_u32 s4, s2
	s_cselect_b32 s2, s5, s3
	s_load_b512 s[4:19], s[0:1], 0x0
	s_xor_b32 s2, s2, s24
	s_wait_alu 0xfffe
	s_sub_co_i32 s38, s2, s24
	s_load_b64 s[2:3], s[0:1], 0xb8
	s_abs_i32 s31, s38
	s_delay_alu instid0(SALU_CYCLE_1) | instskip(NEXT) | instid1(SALU_CYCLE_3)
	s_cvt_f32_u32 s24, s31
	v_rcp_iflag_f32_e32 v1, s24
	s_wait_kmcnt 0x0
	s_cmp_eq_u64 s[10:11], 0
	s_delay_alu instid0(TRANS32_DEP_1)
	v_readfirstlane_b32 s24, v1
	s_cbranch_scc1 .LBB22_2
; %bb.1:
	s_abs_i32 s2, s2
	s_wait_alu 0xfffe
	s_cvt_f32_u32 s25, s2
	s_sub_co_i32 s26, 0, s2
	s_wait_alu 0xfffe
	s_delay_alu instid0(SALU_CYCLE_1) | instskip(NEXT) | instid1(TRANS32_DEP_1)
	v_rcp_iflag_f32_e32 v1, s25
	v_readfirstlane_b32 s25, v1
	s_mul_f32 s25, s25, 0x4f7ffffe
	s_wait_alu 0xfffe
	s_delay_alu instid0(SALU_CYCLE_2) | instskip(SKIP_1) | instid1(SALU_CYCLE_2)
	s_cvt_u32_f32 s25, s25
	s_wait_alu 0xfffe
	s_mul_i32 s26, s26, s25
	s_delay_alu instid0(SALU_CYCLE_1)
	s_mul_hi_u32 s29, s25, s26
	s_load_b64 s[26:27], s[0:1], 0xc8
	s_add_co_i32 s25, s25, s29
	s_wait_alu 0xfffe
	s_mul_hi_u32 s25, s28, s25
	s_wait_alu 0xfffe
	s_mul_i32 s25, s25, s2
	s_wait_alu 0xfffe
	s_sub_co_i32 s25, s28, s25
	s_wait_alu 0xfffe
	s_sub_co_i32 s29, s25, s2
	s_cmp_ge_u32 s25, s2
	s_cselect_b32 s25, s29, s25
	s_wait_alu 0xfffe
	s_sub_co_i32 s29, s25, s2
	s_cmp_ge_u32 s25, s2
	s_cselect_b32 s34, s29, s25
	s_delay_alu instid0(SALU_CYCLE_1) | instskip(SKIP_2) | instid1(SALU_CYCLE_1)
	s_ashr_i32 s35, s34, 31
	s_wait_kmcnt 0x0
	s_mul_u64 s[26:27], s[26:27], s[34:35]
	s_add_nc_u64 s[34:35], s[10:11], s[26:27]
.LBB22_2:
	v_lshrrev_b32_e32 v1, 10, v0
	s_load_b96 s[40:42], s[0:1], 0x70
	v_bfe_u32 v4, v0, 10, 10
	v_and_b32_e32 v0, 0x3ff, v0
	s_delay_alu instid0(VALU_DEP_3) | instskip(NEXT) | instid1(VALU_DEP_3)
	v_bfe_u32 v1, v1, 2, 8
	v_lshlrev_b32_e32 v12, 1, v4
	s_delay_alu instid0(VALU_DEP_2) | instskip(NEXT) | instid1(VALU_DEP_2)
	v_lshl_add_u32 v1, ttmp9, 1, v1
	v_and_b32_e32 v9, 6, v12
	s_delay_alu instid0(VALU_DEP_2) | instskip(SKIP_3) | instid1(VALU_DEP_1)
	v_mul_hi_u32 v2, s20, v1
	s_wait_kmcnt 0x0
	s_mul_i32 s20, s33, s41
	s_ashr_i32 s27, s41, 31
	v_add_nc_u32_e32 v2, v1, v2
	s_mov_b32 s26, s41
	s_ashr_i32 s41, s40, 31
	s_delay_alu instid0(SALU_CYCLE_1) | instskip(NEXT) | instid1(VALU_DEP_1)
	s_lshr_b64 s[10:11], s[40:41], 2
	v_lshrrev_b32_e32 v2, s21, v2
	s_lshr_b32 s2, s41, 2
	s_wait_alu 0xfffe
	s_ashr_i32 s21, s20, 31
	s_delay_alu instid0(VALU_DEP_1) | instskip(NEXT) | instid1(VALU_DEP_1)
	v_mul_lo_u32 v2, v2, s22
	v_sub_nc_u32_e32 v11, v1, v2
	s_delay_alu instid0(VALU_DEP_1)
	v_mad_co_u64_u32 v[2:3], null, s10, v11, 0
	s_lshr_b64 s[10:11], s[26:27], 2
	s_mul_i32 s26, s28, s42
	s_wait_alu 0xfffe
	v_mad_co_u64_u32 v[5:6], null, s10, v9, 0
	v_mad_co_u64_u32 v[7:8], null, s2, v11, v[3:4]
	s_lshr_b32 s2, s27, 2
	s_ashr_i32 s27, s26, 31
	s_delay_alu instid0(SALU_CYCLE_1) | instskip(NEXT) | instid1(SALU_CYCLE_1)
	s_add_nc_u64 s[4:5], s[4:5], s[26:27]
	s_add_nc_u64 s[4:5], s[4:5], s[20:21]
	v_mov_b32_e32 v3, v7
	s_wait_alu 0xfffe
	v_mad_co_u64_u32 v[6:7], null, s2, v9, v[6:7]
	v_lshlrev_b32_e32 v7, 4, v0
	s_delay_alu instid0(VALU_DEP_3) | instskip(NEXT) | instid1(VALU_DEP_1)
	v_lshlrev_b64_e32 v[2:3], 2, v[2:3]
	v_add_co_u32 v8, vcc_lo, s4, v2
	s_delay_alu instid0(VALU_DEP_1) | instskip(SKIP_1) | instid1(VALU_DEP_3)
	v_add_co_ci_u32_e64 v10, null, s5, v3, vcc_lo
	v_lshlrev_b64_e32 v[2:3], 2, v[5:6]
	v_add_co_u32 v7, vcc_lo, v8, v7
	s_wait_alu 0xfffd
	s_delay_alu instid0(VALU_DEP_3)
	v_add_co_ci_u32_e64 v8, null, 0, v10, vcc_lo
	s_load_b32 s4, s[0:1], 0x40
	v_add_co_u32 v2, vcc_lo, v7, v2
	s_wait_alu 0xfffd
	v_add_co_ci_u32_e64 v3, null, v8, v3, vcc_lo
	v_cmp_gt_u32_e32 vcc_lo, 16, v0
	global_load_b128 v[13:16], v[2:3], off
	s_wait_loadcnt 0x0
	s_wait_kmcnt 0x0
	v_fma_mixlo_f16 v5, s4, v14, 0
	v_fma_mixlo_f16 v6, s4, v13, 0
	;; [unrolled: 1-line block ×4, first 2 shown]
	s_delay_alu instid0(VALU_DEP_4) | instskip(NEXT) | instid1(VALU_DEP_4)
	v_lshlrev_b32_e32 v14, 16, v5
	v_and_b32_e32 v6, 0xffff, v6
	v_lshlrev_b32_e32 v5, 3, v0
	s_delay_alu instid0(VALU_DEP_4) | instskip(SKIP_1) | instid1(VALU_DEP_4)
	v_lshlrev_b32_e32 v13, 16, v13
	v_and_b32_e32 v10, 0xffff, v10
	v_or_b32_e32 v15, v14, v6
	v_mul_u32_u24_e32 v6, 0x300, v4
	v_mad_u32_u24 v16, 0x300, v4, v5
	s_delay_alu instid0(VALU_DEP_4) | instskip(NEXT) | instid1(VALU_DEP_4)
	v_or3_b32 v14, v13, v10, 0
	v_or3_b32 v13, 0, 0, v15
	ds_store_b64 v16, v[13:14]
	s_and_saveexec_b32 s2, vcc_lo
	s_cbranch_execz .LBB22_4
; %bb.3:
	global_load_b128 v[13:16], v[2:3], off offset:512
	s_wait_loadcnt 0x0
	v_fma_mixlo_f16 v2, s4, v14, 0
	v_fma_mixlo_f16 v3, s4, v13, 0
	;; [unrolled: 1-line block ×4, first 2 shown]
	s_delay_alu instid0(VALU_DEP_4) | instskip(NEXT) | instid1(VALU_DEP_4)
	v_lshlrev_b32_e32 v2, 16, v2
	v_and_b32_e32 v3, 0xffff, v3
	s_delay_alu instid0(VALU_DEP_4) | instskip(NEXT) | instid1(VALU_DEP_4)
	v_and_b32_e32 v10, 0xffff, v10
	v_lshlrev_b32_e32 v13, 16, v13
	s_delay_alu instid0(VALU_DEP_3) | instskip(NEXT) | instid1(VALU_DEP_2)
	v_or_b32_e32 v2, v2, v3
	v_or3_b32 v3, v13, v10, 0
	v_add_nc_u32_e32 v10, v5, v6
	s_delay_alu instid0(VALU_DEP_3)
	v_or3_b32 v2, 0, 0, v2
	ds_store_b64 v10, v[2:3] offset:256
.LBB22_4:
	s_wait_alu 0xfffe
	s_or_b32 exec_lo, exec_lo, s2
	v_or_b32_e32 v10, 1, v12
	s_delay_alu instid0(VALU_DEP_1) | instskip(NEXT) | instid1(VALU_DEP_1)
	v_and_b32_e32 v13, 7, v10
	v_mad_co_u64_u32 v[2:3], null, s10, v13, 0
	s_delay_alu instid0(VALU_DEP_1) | instskip(NEXT) | instid1(VALU_DEP_1)
	v_mad_co_u64_u32 v[13:14], null, s11, v13, v[3:4]
	v_mov_b32_e32 v3, v13
	s_delay_alu instid0(VALU_DEP_1) | instskip(NEXT) | instid1(VALU_DEP_1)
	v_lshlrev_b64_e32 v[2:3], 2, v[2:3]
	v_add_co_u32 v2, s2, v7, v2
	s_wait_alu 0xf1ff
	s_delay_alu instid0(VALU_DEP_2)
	v_add_co_ci_u32_e64 v3, null, v8, v3, s2
	global_load_b128 v[13:16], v[2:3], off
	s_wait_loadcnt 0x0
	v_fma_mixlo_f16 v7, s4, v14, 0
	v_fma_mixlo_f16 v8, s4, v13, 0
	;; [unrolled: 1-line block ×4, first 2 shown]
	v_mad_u32_u24 v15, 0x180, v10, v5
	v_lshlrev_b32_e32 v7, 16, v7
	v_and_b32_e32 v8, 0xffff, v8
	v_and_b32_e32 v13, 0xffff, v13
	v_lshlrev_b32_e32 v14, 16, v14
	s_delay_alu instid0(VALU_DEP_3) | instskip(NEXT) | instid1(VALU_DEP_2)
	v_or_b32_e32 v7, v7, v8
	v_or3_b32 v8, v14, v13, 0
	s_delay_alu instid0(VALU_DEP_2)
	v_or3_b32 v7, 0, 0, v7
	ds_store_b64 v15, v[7:8]
	s_and_saveexec_b32 s2, vcc_lo
	s_cbranch_execz .LBB22_6
; %bb.5:
	global_load_b128 v[13:16], v[2:3], off offset:512
	v_mul_u32_u24_e32 v10, 0x180, v10
	s_wait_loadcnt 0x0
	v_fma_mixlo_f16 v2, s4, v14, 0
	v_fma_mixlo_f16 v3, s4, v13, 0
	;; [unrolled: 1-line block ×4, first 2 shown]
	s_delay_alu instid0(VALU_DEP_4) | instskip(NEXT) | instid1(VALU_DEP_4)
	v_lshlrev_b32_e32 v2, 16, v2
	v_and_b32_e32 v3, 0xffff, v3
	s_delay_alu instid0(VALU_DEP_4) | instskip(NEXT) | instid1(VALU_DEP_4)
	v_and_b32_e32 v7, 0xffff, v7
	v_lshlrev_b32_e32 v8, 16, v8
	s_delay_alu instid0(VALU_DEP_3) | instskip(NEXT) | instid1(VALU_DEP_2)
	v_or_b32_e32 v2, v2, v3
	v_or3_b32 v3, v8, v7, 0
	v_add_nc_u32_e32 v7, v5, v10
	s_delay_alu instid0(VALU_DEP_3)
	v_or3_b32 v2, 0, 0, v2
	ds_store_b64 v7, v[2:3] offset:256
.LBB22_6:
	s_wait_alu 0xfffe
	s_or_b32 exec_lo, exec_lo, s2
	s_cmp_eq_u64 s[14:15], 0
	s_wait_dscnt 0x0
	s_barrier_signal -1
	s_barrier_wait -1
	global_inv scope:SCOPE_SE
	s_cbranch_scc1 .LBB22_8
; %bb.7:
	s_load_b32 s2, s[0:1], 0xd0
	s_mov_b32 s5, 0
	s_wait_kmcnt 0x0
	s_mul_i32 s2, s2, s28
	s_wait_alu 0xfffe
	s_add_co_i32 s4, s2, ttmp9
	s_wait_alu 0xfffe
	s_lshl_b64 s[4:5], s[4:5], 2
	s_wait_alu 0xfffe
	s_add_nc_u64 s[4:5], s[14:15], s[4:5]
	s_load_b32 s30, s[4:5], 0x0
.LBB22_8:
	s_and_b32 s2, ttmp7, 0xffff
	v_mbcnt_lo_u32_b32 v7, -1, 0
	s_wait_alu 0xfffe
	s_lshl_b32 s4, s2, 5
	s_wait_kmcnt 0x0
	s_wait_alu 0xfffe
	s_cmp_lt_i32 s4, s30
	s_cbranch_scc1 .LBB22_11
; %bb.9:
	v_mbcnt_lo_u32_b32 v2, -1, 0
	v_mov_b32_e32 v8, 32
	s_delay_alu instid0(VALU_DEP_2)
	v_xor_b32_e32 v32, 16, v2
	v_xor_b32_e32 v28, 8, v2
	;; [unrolled: 1-line block ×5, first 2 shown]
	v_lshlrev_b32_e32 v10, 2, v0
	s_mov_b32 s29, 0
	s_cbranch_execz .LBB22_12
; %bb.10:
	v_dual_mov_b32 v21, 0 :: v_dual_mov_b32 v4, 0xfeffffff
	v_dual_mov_b32 v27, 0 :: v_dual_mov_b32 v22, 0
	;; [unrolled: 1-line block ×3, first 2 shown]
	v_mov_b32_e32 v33, 0
	v_mov_b32_e32 v11, 0
	s_branch .LBB22_24
.LBB22_11:
                                        ; implicit-def: $vgpr2
                                        ; implicit-def: $vgpr8
                                        ; implicit-def: $vgpr32
                                        ; implicit-def: $vgpr28
                                        ; implicit-def: $vgpr29
                                        ; implicit-def: $vgpr30
                                        ; implicit-def: $vgpr31
	v_lshlrev_b32_e32 v10, 2, v0
	s_mov_b32 s29, 0
.LBB22_12:
	s_mul_f32 s5, s24, 0x4f7ffffe
	s_clause 0x1
	s_load_b128 s[24:27], s[0:1], 0x98
	s_load_b64 s[14:15], s[0:1], 0x8c
	s_sub_co_i32 s10, 0, s31
	v_lshrrev_b32_e32 v2, 3, v0
	s_cvt_u32_f32 s5, s5
	s_abs_i32 s36, s33
	s_mov_b32 s11, s37
	s_ashr_i32 s21, s33, 31
	s_wait_alu 0xfffe
	s_mul_i32 s10, s10, s5
	v_lshl_add_u32 v8, v4, 2, v2
	s_wait_alu 0xfffe
	s_mul_hi_u32 s10, s5, s10
	v_lshrrev_b32_e32 v13, 4, v0
	s_wait_alu 0xfffe
	s_add_co_i32 s10, s5, s10
	s_ashr_i32 s5, s38, 31
	s_wait_alu 0xfffe
	s_mul_u64 s[10:11], s[36:37], s[10:11]
	s_xor_b32 s5, s21, s5
	s_wait_alu 0xfffe
	s_mul_i32 s21, s11, s31
	s_ashr_i32 s3, s3, 1
	s_wait_alu 0xfffe
	s_sub_co_i32 s21, s36, s21
	s_add_co_i32 s37, s11, 1
	s_wait_kmcnt 0x0
	s_ashr_i32 s10, s26, 2
	s_ashr_i32 s14, s14, 2
	s_wait_alu 0xfffe
	s_sub_co_i32 s26, s21, s31
	s_clause 0x1
	s_load_b32 s20, s[0:1], 0x54
	s_load_b64 s[40:41], s[0:1], 0xa8
	s_cmp_ge_u32 s21, s31
	v_mul_lo_u32 v2, s14, v8
	s_cselect_b32 s11, s37, s11
	v_dual_mov_b32 v25, 0xfeffffff :: v_dual_add_nc_u32 v20, v13, v12
	s_cselect_b32 s21, s26, s21
	s_wait_alu 0xfffe
	s_add_co_i32 s26, s11, 1
	s_cmp_ge_u32 s21, s31
	v_mul_lo_u32 v17, s10, v20
	s_cselect_b32 s11, s26, s11
	v_dual_mov_b32 v23, 0 :: v_dual_and_b32 v14, 28, v10
	v_ashrrev_i32_e32 v3, 31, v2
	s_wait_alu 0xfffe
	s_xor_b32 s11, s11, s5
	s_mul_u64 s[24:25], s[24:25], s[28:29]
	s_wait_alu 0xfffe
	s_sub_co_i32 s5, s11, s5
	s_add_nc_u64 s[6:7], s[6:7], s[24:25]
	s_wait_alu 0xfffe
	s_mul_i32 s24, s5, s15
	v_mul_u32_u24_e32 v8, 0x90, v8
	v_dual_mov_b32 v14, 0 :: v_dual_lshlrev_b32 v13, 2, v14
	v_lshlrev_b64_e32 v[2:3], 2, v[2:3]
	s_wait_alu 0xfffe
	s_ashr_i32 s25, s24, 31
	v_ashrrev_i32_e32 v18, 31, v17
	s_wait_alu 0xfffe
	s_add_nc_u64 s[6:7], s[6:7], s[24:25]
	v_add3_u32 v12, v8, v13, 0x1800
	v_and_b32_e32 v8, 60, v10
	v_add_co_u32 v2, vcc_lo, s6, v2
	s_wait_kmcnt 0x0
	s_mul_u64 s[36:37], s[40:41], s[28:29]
	s_mul_i32 s26, s5, s27
	v_lshlrev_b64_e32 v[18:19], 2, v[17:18]
	s_wait_alu 0xfffd
	v_add_co_ci_u32_e64 v3, null, s7, v3, vcc_lo
	s_add_nc_u64 s[8:9], s[8:9], s[36:37]
	s_ashr_i32 s27, s26, 31
	v_dual_mov_b32 v21, 0 :: v_dual_lshlrev_b32 v8, 2, v8
	s_add_nc_u64 s[8:9], s[8:9], s[26:27]
	v_add_co_u32 v13, vcc_lo, v2, v13
	s_wait_alu 0xfffd
	v_add_co_ci_u32_e64 v15, null, 0, v3, vcc_lo
	v_lshl_add_u32 v17, v4, 7, 0x2a00
	v_add_co_u32 v4, vcc_lo, s8, v18
	v_mad_co_u64_u32 v[2:3], null, v11, s3, v[0:1]
	v_lshl_or_b32 v3, v20, 8, v8
	s_wait_alu 0xfffd
	v_add_co_ci_u32_e64 v11, null, s9, v19, vcc_lo
	s_movk_i32 s5, 0x1800
	v_add_co_u32 v19, vcc_lo, v4, v8
	s_wait_alu 0xfffe
	v_mad_u32_u24 v16, 0x90, v0, s5
	v_add_nc_u32_e32 v18, 0x1800, v3
	s_wait_alu 0xfffd
	v_add_co_ci_u32_e64 v20, null, 0, v11, vcc_lo
	v_dual_mov_b32 v8, 32 :: v_dual_mov_b32 v11, 0
	v_mov_b32_e32 v22, 0
	v_mov_b32_e32 v26, 0xfeffffff
	;; [unrolled: 1-line block ×3, first 2 shown]
	s_ashr_i32 s15, s14, 31
	s_ashr_i32 s11, s10, 31
	s_add_nc_u64 s[6:7], s[0:1], 0xd0
	s_mov_b32 s3, 0xbbbac73d
.LBB22_13:                              ; =>This Inner Loop Header: Depth=1
	s_ashr_i32 s5, s4, 31
	s_wait_alu 0xfffe
	s_mul_u64 s[8:9], s[4:5], s[14:15]
	s_wait_alu 0xfffe
	s_lshl_b64 s[8:9], s[8:9], 2
	s_wait_alu 0xfffe
	v_add_co_u32 v3, vcc_lo, v13, s8
	s_wait_alu 0xfffd
	v_add_co_ci_u32_e64 v4, null, s9, v15, vcc_lo
	global_load_b128 v[27:30], v[3:4], off
	s_wait_loadcnt 0x0
	ds_store_b128 v12, v[27:30]
	s_wait_dscnt 0x0
	s_barrier_signal -1
	s_barrier_wait -1
	global_inv scope:SCOPE_SE
	ds_load_b128 v[29:32], v16
	ds_load_b128 v[33:36], v6
	ds_load_b128 v[37:40], v6 offset:384
	v_dual_mov_b32 v28, 0 :: v_dual_mov_b32 v27, 0
	s_wait_dscnt 0x1
	;;#ASMSTART
	v_dot2_f32_f16 v28, v29, v33, v28
	;;#ASMEND
	;;#ASMSTART
	v_dot2_f32_f16 v28, v30, v34, v28
	;;#ASMEND
	;;#ASMSTART
	v_dot2_f32_f16 v28, v31, v35, v28
	;;#ASMEND
	;;#ASMSTART
	v_dot2_f32_f16 v28, v32, v36, v28
	;;#ASMEND
	s_wait_dscnt 0x0
	;;#ASMSTART
	v_dot2_f32_f16 v27, v29, v37, v27
	;;#ASMEND
	;;#ASMSTART
	v_dot2_f32_f16 v27, v30, v38, v27
	;;#ASMEND
	;;#ASMSTART
	v_dot2_f32_f16 v27, v31, v39, v27
	;;#ASMEND
	;;#ASMSTART
	v_dot2_f32_f16 v27, v32, v40, v27
	;;#ASMEND
	ds_load_b128 v[29:32], v16 offset:16
	ds_load_b128 v[33:36], v6 offset:16
	ds_load_b128 v[37:40], v6 offset:400
	s_wait_dscnt 0x1
	;;#ASMSTART
	v_dot2_f32_f16 v28, v29, v33, v28
	;;#ASMEND
	;;#ASMSTART
	v_dot2_f32_f16 v28, v30, v34, v28
	;;#ASMEND
	;;#ASMSTART
	v_dot2_f32_f16 v28, v31, v35, v28
	;;#ASMEND
	;;#ASMSTART
	v_dot2_f32_f16 v28, v32, v36, v28
	;;#ASMEND
	s_wait_dscnt 0x0
	;;#ASMSTART
	v_dot2_f32_f16 v27, v29, v37, v27
	;;#ASMEND
	;;#ASMSTART
	v_dot2_f32_f16 v27, v30, v38, v27
	;;#ASMEND
	;;#ASMSTART
	v_dot2_f32_f16 v27, v31, v39, v27
	;;#ASMEND
	;;#ASMSTART
	v_dot2_f32_f16 v27, v32, v40, v27
	;;#ASMEND
	ds_load_b128 v[29:32], v16 offset:32
	ds_load_b128 v[33:36], v6 offset:32
	ds_load_b128 v[37:40], v6 offset:416
	;; [unrolled: 29-line block ×7, first 2 shown]
	s_wait_dscnt 0x1
	;;#ASMSTART
	v_dot2_f32_f16 v28, v29, v33, v28
	;;#ASMEND
	;;#ASMSTART
	v_dot2_f32_f16 v28, v30, v34, v28
	;;#ASMEND
	;;#ASMSTART
	v_dot2_f32_f16 v28, v31, v35, v28
	;;#ASMEND
	;;#ASMSTART
	v_dot2_f32_f16 v28, v32, v36, v28
	;;#ASMEND
	s_wait_dscnt 0x0
	;;#ASMSTART
	v_dot2_f32_f16 v27, v29, v37, v27
	;;#ASMEND
	;;#ASMSTART
	v_dot2_f32_f16 v27, v30, v38, v27
	;;#ASMEND
	;; [unrolled: 3-line block ×4, first 2 shown]
	s_wait_loadcnt 0x0
	s_barrier_signal -1
	s_barrier_wait -1
	global_inv scope:SCOPE_SE
	global_load_b128 v[29:32], v[3:4], off offset:128
	s_wait_loadcnt 0x0
	ds_store_b128 v12, v[29:32]
	s_wait_dscnt 0x0
	s_barrier_signal -1
	s_barrier_wait -1
	global_inv scope:SCOPE_SE
	ds_load_b128 v[29:32], v16
	ds_load_b128 v[33:36], v6 offset:128
	ds_load_b128 v[37:40], v6 offset:512
	s_wait_dscnt 0x1
	;;#ASMSTART
	v_dot2_f32_f16 v28, v29, v33, v28
	;;#ASMEND
	;;#ASMSTART
	v_dot2_f32_f16 v28, v30, v34, v28
	;;#ASMEND
	;;#ASMSTART
	v_dot2_f32_f16 v28, v31, v35, v28
	;;#ASMEND
	;;#ASMSTART
	v_dot2_f32_f16 v28, v32, v36, v28
	;;#ASMEND
	s_wait_dscnt 0x0
	;;#ASMSTART
	v_dot2_f32_f16 v27, v29, v37, v27
	;;#ASMEND
	;;#ASMSTART
	v_dot2_f32_f16 v27, v30, v38, v27
	;;#ASMEND
	;;#ASMSTART
	v_dot2_f32_f16 v27, v31, v39, v27
	;;#ASMEND
	;;#ASMSTART
	v_dot2_f32_f16 v27, v32, v40, v27
	;;#ASMEND
	ds_load_b128 v[29:32], v16 offset:16
	ds_load_b128 v[33:36], v6 offset:144
	ds_load_b128 v[37:40], v6 offset:528
	s_wait_dscnt 0x1
	;;#ASMSTART
	v_dot2_f32_f16 v28, v29, v33, v28
	;;#ASMEND
	;;#ASMSTART
	v_dot2_f32_f16 v28, v30, v34, v28
	;;#ASMEND
	;;#ASMSTART
	v_dot2_f32_f16 v28, v31, v35, v28
	;;#ASMEND
	;;#ASMSTART
	v_dot2_f32_f16 v28, v32, v36, v28
	;;#ASMEND
	s_wait_dscnt 0x0
	;;#ASMSTART
	v_dot2_f32_f16 v27, v29, v37, v27
	;;#ASMEND
	;;#ASMSTART
	v_dot2_f32_f16 v27, v30, v38, v27
	;;#ASMEND
	;;#ASMSTART
	v_dot2_f32_f16 v27, v31, v39, v27
	;;#ASMEND
	;;#ASMSTART
	v_dot2_f32_f16 v27, v32, v40, v27
	;;#ASMEND
	ds_load_b128 v[29:32], v16 offset:32
	;; [unrolled: 29-line block ×7, first 2 shown]
	ds_load_b128 v[33:36], v6 offset:240
	ds_load_b128 v[37:40], v6 offset:624
	s_wait_dscnt 0x1
	;;#ASMSTART
	v_dot2_f32_f16 v28, v29, v33, v28
	;;#ASMEND
	;;#ASMSTART
	v_dot2_f32_f16 v28, v30, v34, v28
	;;#ASMEND
	;; [unrolled: 3-line block ×4, first 2 shown]
	s_wait_dscnt 0x0
	;;#ASMSTART
	v_dot2_f32_f16 v27, v29, v37, v27
	;;#ASMEND
	;;#ASMSTART
	v_dot2_f32_f16 v27, v30, v38, v27
	;;#ASMEND
	;; [unrolled: 3-line block ×4, first 2 shown]
	s_wait_loadcnt 0x0
	s_barrier_signal -1
	s_barrier_wait -1
	global_inv scope:SCOPE_SE
	global_load_b128 v[29:32], v[3:4], off offset:256
	v_add_nc_u32_e32 v3, s4, v2
	s_delay_alu instid0(VALU_DEP_1) | instskip(NEXT) | instid1(VALU_DEP_1)
	v_ashrrev_i32_e32 v4, 31, v3
	v_lshlrev_b64_e32 v[3:4], 1, v[3:4]
	s_delay_alu instid0(VALU_DEP_1) | instskip(SKIP_1) | instid1(VALU_DEP_2)
	v_add_co_u32 v3, vcc_lo, s34, v3
	s_wait_alu 0xfffd
	v_add_co_ci_u32_e64 v4, null, s35, v4, vcc_lo
	s_wait_loadcnt 0x0
	ds_store_b128 v12, v[29:32]
	s_wait_dscnt 0x0
	s_barrier_signal -1
	s_barrier_wait -1
	global_inv scope:SCOPE_SE
	ds_load_b128 v[29:32], v16
	ds_load_b128 v[33:36], v6 offset:256
	ds_load_b128 v[37:40], v6 offset:640
	s_wait_dscnt 0x1
	;;#ASMSTART
	v_dot2_f32_f16 v28, v29, v33, v28
	;;#ASMEND
	;;#ASMSTART
	v_dot2_f32_f16 v28, v30, v34, v28
	;;#ASMEND
	;;#ASMSTART
	v_dot2_f32_f16 v28, v31, v35, v28
	;;#ASMEND
	;;#ASMSTART
	v_dot2_f32_f16 v28, v32, v36, v28
	;;#ASMEND
	s_wait_dscnt 0x0
	;;#ASMSTART
	v_dot2_f32_f16 v27, v29, v37, v27
	;;#ASMEND
	;;#ASMSTART
	v_dot2_f32_f16 v27, v30, v38, v27
	;;#ASMEND
	;;#ASMSTART
	v_dot2_f32_f16 v27, v31, v39, v27
	;;#ASMEND
	;;#ASMSTART
	v_dot2_f32_f16 v27, v32, v40, v27
	;;#ASMEND
	ds_load_b128 v[29:32], v16 offset:16
	ds_load_b128 v[33:36], v6 offset:272
	ds_load_b128 v[37:40], v6 offset:656
	s_wait_dscnt 0x1
	;;#ASMSTART
	v_dot2_f32_f16 v28, v29, v33, v28
	;;#ASMEND
	;;#ASMSTART
	v_dot2_f32_f16 v28, v30, v34, v28
	;;#ASMEND
	;;#ASMSTART
	v_dot2_f32_f16 v28, v31, v35, v28
	;;#ASMEND
	;;#ASMSTART
	v_dot2_f32_f16 v28, v32, v36, v28
	;;#ASMEND
	s_wait_dscnt 0x0
	;;#ASMSTART
	v_dot2_f32_f16 v27, v29, v37, v27
	;;#ASMEND
	;;#ASMSTART
	v_dot2_f32_f16 v27, v30, v38, v27
	;;#ASMEND
	;;#ASMSTART
	v_dot2_f32_f16 v27, v31, v39, v27
	;;#ASMEND
	;;#ASMSTART
	v_dot2_f32_f16 v27, v32, v40, v27
	;;#ASMEND
	ds_load_b128 v[29:32], v16 offset:32
	;; [unrolled: 29-line block ×7, first 2 shown]
	ds_load_b128 v[33:36], v6 offset:368
	ds_load_b128 v[37:40], v6 offset:752
	s_wait_dscnt 0x1
	;;#ASMSTART
	v_dot2_f32_f16 v28, v29, v33, v28
	;;#ASMEND
	;;#ASMSTART
	v_dot2_f32_f16 v28, v30, v34, v28
	;;#ASMEND
	;; [unrolled: 3-line block ×4, first 2 shown]
	s_wait_dscnt 0x0
	;;#ASMSTART
	v_dot2_f32_f16 v27, v29, v37, v27
	;;#ASMEND
	;;#ASMSTART
	v_dot2_f32_f16 v27, v30, v38, v27
	;;#ASMEND
	;; [unrolled: 3-line block ×4, first 2 shown]
	global_load_u16 v3, v[3:4], off
	v_cmp_ngt_f32_e64 s8, 0x3f200000, |v28|
                                        ; implicit-def: $vgpr4
	s_and_saveexec_b32 s9, s8
	s_wait_alu 0xfffe
	s_xor_b32 s8, exec_lo, s9
	s_cbranch_execz .LBB22_15
; %bb.14:                               ;   in Loop: Header=BB22_13 Depth=1
	v_add_f32_e64 v4, |v28|, |v28|
	s_delay_alu instid0(VALU_DEP_1) | instskip(SKIP_1) | instid1(VALU_DEP_2)
	v_mul_f32_e32 v29, 0x3fb8aa3b, v4
	v_cmp_ngt_f32_e32 vcc_lo, 0xc2ce8ed0, v4
	v_rndne_f32_e32 v30, v29
	v_fma_f32 v31, 0x3fb8aa3b, v4, -v29
	s_delay_alu instid0(VALU_DEP_2) | instskip(NEXT) | instid1(VALU_DEP_2)
	v_sub_f32_e32 v29, v29, v30
	v_fmac_f32_e32 v31, 0x32a5705f, v4
	v_cvt_i32_f32_e32 v30, v30
	s_delay_alu instid0(VALU_DEP_2) | instskip(NEXT) | instid1(VALU_DEP_1)
	v_add_f32_e32 v29, v29, v31
	v_exp_f32_e32 v29, v29
	s_delay_alu instid0(TRANS32_DEP_1) | instskip(SKIP_1) | instid1(VALU_DEP_1)
	v_ldexp_f32 v29, v29, v30
	s_wait_alu 0xfffd
	v_cndmask_b32_e32 v29, 0, v29, vcc_lo
	v_cmp_nlt_f32_e32 vcc_lo, 0x42b17218, v4
	s_wait_alu 0xfffd
	s_delay_alu instid0(VALU_DEP_2) | instskip(NEXT) | instid1(VALU_DEP_1)
	v_cndmask_b32_e32 v4, 0x7f800000, v29, vcc_lo
	v_add_f32_e32 v4, 1.0, v4
	s_delay_alu instid0(VALU_DEP_1) | instskip(NEXT) | instid1(TRANS32_DEP_1)
	v_rcp_f32_e32 v4, v4
	v_fma_f32 v4, v4, -2.0, 1.0
.LBB22_15:                              ;   in Loop: Header=BB22_13 Depth=1
	s_wait_alu 0xfffe
	s_and_not1_saveexec_b32 s8, s8
	s_cbranch_execz .LBB22_17
; %bb.16:                               ;   in Loop: Header=BB22_13 Depth=1
	v_mul_f32_e32 v4, v28, v28
	s_delay_alu instid0(VALU_DEP_1) | instskip(NEXT) | instid1(VALU_DEP_1)
	v_fmaak_f32 v29, s3, v4, 0x3ca908c9
	v_fmaak_f32 v29, v4, v29, 0xbd5c1c4e
	s_delay_alu instid0(VALU_DEP_1) | instskip(NEXT) | instid1(VALU_DEP_1)
	v_fmaak_f32 v29, v4, v29, 0x3e088382
	v_fmaak_f32 v29, v4, v29, 0xbeaaaa99
	s_delay_alu instid0(VALU_DEP_1) | instskip(NEXT) | instid1(VALU_DEP_1)
	v_mul_f32_e64 v29, |v28|, v29
	v_fma_f32 v4, v4, v29, |v28|
.LBB22_17:                              ;   in Loop: Header=BB22_13 Depth=1
	s_wait_alu 0xfffe
	s_or_b32 exec_lo, exec_lo, s8
	s_delay_alu instid0(VALU_DEP_1)
	v_bfi_b32 v4, 0x7fffffff, v4, v28
	v_xor_b32_e32 v32, 16, v7
	v_cmp_ngt_f32_e64 s8, 0x3f200000, |v27|
	v_max_num_f32_e32 v29, v25, v25
	s_wait_loadcnt 0x0
	v_fma_mix_f32 v33, s20, v4, v3 op_sel_hi:[0,0,1]
	v_cmp_gt_i32_e32 vcc_lo, 32, v32
	s_delay_alu instid0(VALU_DEP_2) | instskip(SKIP_2) | instid1(VALU_DEP_2)
	v_add_f32_e32 v28, 0x40051340, v33
	s_wait_alu 0xfffd
	v_cndmask_b32_e32 v4, v7, v32, vcc_lo
	v_max_num_f32_e32 v29, v29, v28
	s_delay_alu instid0(VALU_DEP_2)
	v_lshlrev_b32_e32 v4, 2, v4
	v_xor_b32_e32 v28, 8, v7
	ds_bpermute_b32 v30, v4, v29
	v_cmp_gt_i32_e32 vcc_lo, 32, v28
	s_wait_dscnt 0x0
	s_wait_alu 0xfffd
	v_dual_max_num_f32 v30, v30, v30 :: v_dual_cndmask_b32 v31, v7, v28
	s_delay_alu instid0(VALU_DEP_1) | instskip(NEXT) | instid1(VALU_DEP_2)
	v_max_num_f32_e32 v30, v29, v30
	v_lshlrev_b32_e32 v34, 2, v31
	v_xor_b32_e32 v29, 4, v7
	ds_bpermute_b32 v31, v34, v30
	v_cmp_gt_i32_e32 vcc_lo, 32, v29
	s_wait_alu 0xfffd
	v_cndmask_b32_e32 v35, v7, v29, vcc_lo
	s_delay_alu instid0(VALU_DEP_1) | instskip(SKIP_2) | instid1(VALU_DEP_1)
	v_lshlrev_b32_e32 v35, 2, v35
	s_wait_dscnt 0x0
	v_max_num_f32_e32 v31, v31, v31
	v_max_num_f32_e32 v31, v30, v31
	v_xor_b32_e32 v30, 2, v7
	ds_bpermute_b32 v36, v35, v31
	v_cmp_gt_i32_e32 vcc_lo, 32, v30
	s_wait_dscnt 0x0
	s_wait_alu 0xfffd
	v_dual_cndmask_b32 v37, v7, v30 :: v_dual_max_num_f32 v38, v36, v36
	s_delay_alu instid0(VALU_DEP_1)
	v_dual_max_num_f32 v37, v31, v38 :: v_dual_lshlrev_b32 v36, 2, v37
	v_xor_b32_e32 v31, 1, v7
	ds_bpermute_b32 v38, v36, v37
	v_cmp_gt_i32_e32 vcc_lo, 32, v31
	s_wait_dscnt 0x0
	s_wait_alu 0xfffd
	v_dual_cndmask_b32 v39, v7, v31 :: v_dual_max_num_f32 v40, v38, v38
	s_delay_alu instid0(VALU_DEP_1)
	v_dual_max_num_f32 v37, v37, v40 :: v_dual_lshlrev_b32 v38, 2, v39
                                        ; implicit-def: $vgpr40
	ds_bpermute_b32 v39, v38, v37
	s_and_saveexec_b32 s9, s8
	s_wait_alu 0xfffe
	s_xor_b32 s8, exec_lo, s9
	s_cbranch_execz .LBB22_19
; %bb.18:                               ;   in Loop: Header=BB22_13 Depth=1
	v_add_f32_e64 v40, |v27|, |v27|
	s_delay_alu instid0(VALU_DEP_1) | instskip(SKIP_1) | instid1(VALU_DEP_2)
	v_mul_f32_e32 v41, 0x3fb8aa3b, v40
	v_cmp_ngt_f32_e32 vcc_lo, 0xc2ce8ed0, v40
	v_rndne_f32_e32 v42, v41
	v_fma_f32 v43, 0x3fb8aa3b, v40, -v41
	s_delay_alu instid0(VALU_DEP_2) | instskip(NEXT) | instid1(VALU_DEP_2)
	v_sub_f32_e32 v41, v41, v42
	v_fmac_f32_e32 v43, 0x32a5705f, v40
	v_cvt_i32_f32_e32 v42, v42
	s_delay_alu instid0(VALU_DEP_2) | instskip(NEXT) | instid1(VALU_DEP_1)
	v_add_f32_e32 v41, v41, v43
	v_exp_f32_e32 v41, v41
	s_delay_alu instid0(TRANS32_DEP_1) | instskip(SKIP_1) | instid1(VALU_DEP_1)
	v_ldexp_f32 v41, v41, v42
	s_wait_alu 0xfffd
	v_cndmask_b32_e32 v41, 0, v41, vcc_lo
	v_cmp_nlt_f32_e32 vcc_lo, 0x42b17218, v40
	s_wait_alu 0xfffd
	s_delay_alu instid0(VALU_DEP_2) | instskip(NEXT) | instid1(VALU_DEP_1)
	v_cndmask_b32_e32 v40, 0x7f800000, v41, vcc_lo
	v_add_f32_e32 v40, 1.0, v40
	s_delay_alu instid0(VALU_DEP_1) | instskip(NEXT) | instid1(TRANS32_DEP_1)
	v_rcp_f32_e32 v40, v40
	v_fma_f32 v40, v40, -2.0, 1.0
.LBB22_19:                              ;   in Loop: Header=BB22_13 Depth=1
	s_wait_alu 0xfffe
	s_and_not1_saveexec_b32 s8, s8
	s_cbranch_execz .LBB22_21
; %bb.20:                               ;   in Loop: Header=BB22_13 Depth=1
	v_mul_f32_e32 v40, v27, v27
	s_delay_alu instid0(VALU_DEP_1) | instskip(NEXT) | instid1(VALU_DEP_1)
	v_fmaak_f32 v41, s3, v40, 0x3ca908c9
	v_fmaak_f32 v41, v40, v41, 0xbd5c1c4e
	s_delay_alu instid0(VALU_DEP_1) | instskip(NEXT) | instid1(VALU_DEP_1)
	v_fmaak_f32 v41, v40, v41, 0x3e088382
	v_fmaak_f32 v41, v40, v41, 0xbeaaaa99
	s_delay_alu instid0(VALU_DEP_1) | instskip(NEXT) | instid1(VALU_DEP_1)
	v_mul_f32_e64 v41, |v27|, v41
	v_fma_f32 v40, v40, v41, |v27|
.LBB22_21:                              ;   in Loop: Header=BB22_13 Depth=1
	s_wait_alu 0xfffe
	s_or_b32 exec_lo, exec_lo, s8
	s_mul_u64 s[8:9], s[4:5], s[10:11]
	s_wait_dscnt 0x0
	s_wait_alu 0xfffe
	s_lshl_b64 s[8:9], s[8:9], 2
	s_barrier_signal -1
	s_wait_alu 0xfffe
	v_add_co_u32 v41, vcc_lo, v19, s8
	s_wait_alu 0xfffd
	v_add_co_ci_u32_e64 v42, null, s9, v20, vcc_lo
	s_barrier_wait -1
	global_inv scope:SCOPE_SE
	v_cvt_f32_f16_e32 v45, v3
	global_load_b128 v[41:44], v[41:42], off
	v_bfi_b32 v3, 0x7fffffff, v40, v27
	s_or_b32 s8, s4, 16
	v_add_nc_u32_e32 v86, 0x1800, v5
	s_wait_alu 0xfffe
	s_ashr_i32 s9, s8, 31
	v_fmac_f32_e32 v45, s20, v3
	v_max_num_f32_e32 v3, v26, v26
	s_wait_alu 0xfffe
	s_mul_u64 s[8:9], s[8:9], s[10:11]
	s_wait_alu 0xfffe
	s_lshl_b64 s[8:9], s[8:9], 2
	v_add_f32_e32 v27, 0x40051340, v45
	s_delay_alu instid0(VALU_DEP_1) | instskip(SKIP_3) | instid1(VALU_DEP_1)
	v_max_num_f32_e32 v3, v3, v27
	ds_bpermute_b32 v4, v4, v3
	s_wait_dscnt 0x0
	v_dual_max_num_f32 v4, v4, v4 :: v_dual_max_num_f32 v27, v39, v39
	v_max_num_f32_e32 v3, v3, v4
	ds_bpermute_b32 v4, v34, v3
	v_max_num_f32_e32 v34, v37, v37
	s_wait_dscnt 0x0
	v_max_num_f32_e32 v4, v4, v4
	s_delay_alu instid0(VALU_DEP_1) | instskip(SKIP_3) | instid1(VALU_DEP_1)
	v_max_num_f32_e32 v3, v3, v4
	ds_bpermute_b32 v4, v35, v3
	s_wait_dscnt 0x0
	v_max_num_f32_e32 v4, v4, v4
	v_max_num_f32_e32 v3, v3, v4
	ds_bpermute_b32 v4, v36, v3
	s_wait_dscnt 0x0
	v_max_num_f32_e32 v4, v4, v4
	s_delay_alu instid0(VALU_DEP_1) | instskip(SKIP_4) | instid1(VALU_DEP_2)
	v_max_num_f32_e32 v4, v3, v4
	ds_bpermute_b32 v3, v38, v4
	s_wait_dscnt 0x0
	v_max_num_f32_e32 v35, v3, v3
	v_max_num_f32_e32 v3, v34, v27
	;; [unrolled: 1-line block ×3, first 2 shown]
	s_delay_alu instid0(VALU_DEP_2) | instskip(SKIP_1) | instid1(VALU_DEP_2)
	v_sub_f32_e32 v27, v33, v3
	v_sub_f32_e32 v25, v25, v3
	v_dual_sub_f32 v34, v45, v4 :: v_dual_mul_f32 v33, 0x3fb8aa3b, v27
	v_sub_f32_e32 v26, v26, v4
	s_delay_alu instid0(VALU_DEP_3) | instskip(SKIP_1) | instid1(VALU_DEP_4)
	v_mul_f32_e32 v88, 0x3fb8aa3b, v25
	v_cmp_ngt_f32_e32 vcc_lo, 0xc2ce8ed0, v27
	v_mul_f32_e32 v35, 0x3fb8aa3b, v34
	v_fma_f32 v36, 0x3fb8aa3b, v27, -v33
	v_rndne_f32_e32 v37, v33
	v_fma_f32 v90, 0x3fb8aa3b, v25, -v88
	v_rndne_f32_e32 v91, v88
	v_rndne_f32_e32 v39, v35
	v_fma_f32 v38, 0x3fb8aa3b, v34, -v35
	v_dual_fmac_f32 v36, 0x32a5705f, v27 :: v_dual_sub_f32 v33, v33, v37
	s_delay_alu instid0(VALU_DEP_4) | instskip(NEXT) | instid1(VALU_DEP_4)
	v_sub_f32_e32 v88, v88, v91
	v_dual_sub_f32 v35, v35, v39 :: v_dual_fmac_f32 v90, 0x32a5705f, v25
	v_add_nc_u32_e32 v87, 0x2000, v5
	s_delay_alu instid0(VALU_DEP_4) | instskip(SKIP_1) | instid1(VALU_DEP_4)
	v_dual_add_f32 v33, v33, v36 :: v_dual_fmac_f32 v38, 0x32a5705f, v34
	v_cvt_i32_f32_e32 v36, v37
	v_add_f32_e32 v88, v88, v90
	v_cvt_i32_f32_e32 v90, v91
	s_delay_alu instid0(VALU_DEP_4) | instskip(SKIP_3) | instid1(VALU_DEP_1)
	v_exp_f32_e32 v33, v33
	v_cvt_i32_f32_e32 v37, v39
	v_mul_f32_e32 v89, 0x3fb8aa3b, v26
	v_exp_f32_e32 v88, v88
	v_fma_f32 v92, 0x3fb8aa3b, v26, -v89
	v_rndne_f32_e32 v93, v89
	s_delay_alu instid0(TRANS32_DEP_2) | instskip(SKIP_1) | instid1(VALU_DEP_4)
	v_ldexp_f32 v33, v33, v36
	v_add_nc_u32_e32 v36, v17, v10
	v_fmac_f32_e32 v92, 0x32a5705f, v26
	s_delay_alu instid0(TRANS32_DEP_1)
	v_ldexp_f32 v88, v88, v90
	v_add_f32_e32 v35, v35, v38
	s_wait_alu 0xfffd
	v_cndmask_b32_e32 v33, 0, v33, vcc_lo
	v_cmp_ngt_f32_e32 vcc_lo, 0xc2ce8ed0, v34
	v_cvt_i32_f32_e32 v91, v93
	v_exp_f32_e32 v35, v35
	s_delay_alu instid0(TRANS32_DEP_1) | instskip(SKIP_1) | instid1(VALU_DEP_1)
	v_ldexp_f32 v35, v35, v37
	s_wait_alu 0xfffd
	v_cndmask_b32_e32 v35, 0, v35, vcc_lo
	v_cmp_nlt_f32_e32 vcc_lo, 0x42b17218, v27
	s_wait_alu 0xfffd
	v_cndmask_b32_e32 v33, 0x7f800000, v33, vcc_lo
	v_cmp_nlt_f32_e32 vcc_lo, 0x42b17218, v34
	s_delay_alu instid0(VALU_DEP_2)
	v_cvt_f16_f32_e32 v34, v33
	s_wait_alu 0xfffd
	v_cndmask_b32_e32 v27, 0x7f800000, v35, vcc_lo
	s_wait_alu 0xfffe
	v_add_co_u32 v82, vcc_lo, v19, s8
	s_wait_alu 0xfffd
	v_add_co_ci_u32_e64 v83, null, s9, v20, vcc_lo
	v_cvt_f16_f32_e32 v35, v27
	v_cmp_ngt_f32_e32 vcc_lo, 0xc2ce8ed0, v25
	s_delay_alu instid0(VALU_DEP_2)
	v_pack_b32_f16 v34, v34, v35
	s_wait_alu 0xfffd
	v_cndmask_b32_e32 v88, 0, v88, vcc_lo
	v_cmp_ngt_f32_e32 vcc_lo, 0xc2ce8ed0, v26
	ds_store_b32 v36, v34
	s_wait_loadcnt 0x0
	ds_store_b128 v18, v[41:44]
	s_wait_dscnt 0x0
	s_barrier_signal -1
	s_barrier_wait -1
	global_inv scope:SCOPE_SE
	ds_load_2addr_b64 v[34:37], v86 offset1:32
	ds_load_b128 v[38:41], v17
	ds_load_b128 v[42:45], v17 offset:16
	ds_load_b128 v[46:49], v17 offset:32
	;; [unrolled: 1-line block ×3, first 2 shown]
	ds_load_2addr_b64 v[54:57], v86 offset0:64 offset1:96
	ds_load_2addr_b64 v[58:61], v86 offset0:128 offset1:160
	;; [unrolled: 1-line block ×3, first 2 shown]
	ds_load_2addr_b64 v[66:69], v87 offset1:32
	ds_load_2addr_b64 v[70:73], v87 offset0:64 offset1:96
	ds_load_2addr_b64 v[74:77], v87 offset0:128 offset1:160
	;; [unrolled: 1-line block ×3, first 2 shown]
	s_wait_loadcnt_dscnt 0x0
	s_barrier_signal -1
	s_barrier_wait -1
	global_inv scope:SCOPE_SE
	global_load_b128 v[82:85], v[82:83], off
	v_sub_f32_e32 v89, v89, v93
	s_delay_alu instid0(VALU_DEP_1)
	v_add_f32_e32 v89, v89, v92
	v_lshrrev_b32_e32 v90, 16, v42
	v_lshrrev_b32_e32 v92, 16, v44
	;; [unrolled: 1-line block ×3, first 2 shown]
	v_and_b32_e32 v45, 0xffff, v45
	v_exp_f32_e32 v89, v89
	v_mul_u32_u24_e32 v90, 0x10001, v90
	v_lshrrev_b32_e32 v94, 16, v46
	v_and_b32_e32 v46, 0xffff, v46
	v_and_b32_e32 v42, 0xffff, v42
	v_mul_u32_u24_e32 v92, 0x10001, v92
	v_mul_u32_u24_e32 v45, 0x10001, v45
	v_lshrrev_b32_e32 v95, 16, v47
	v_and_b32_e32 v47, 0xffff, v47
	v_mul_u32_u24_e32 v42, 0x10001, v42
	v_ldexp_f32 v89, v89, v91
	v_lshrrev_b32_e32 v91, 16, v43
	v_and_b32_e32 v43, 0xffff, v43
	v_mul_u32_u24_e32 v93, 0x10001, v93
	s_wait_alu 0xfffd
	v_dual_cndmask_b32 v89, 0, v89 :: v_dual_and_b32 v44, 0xffff, v44
	v_cmp_nlt_f32_e32 vcc_lo, 0x42b17218, v25
	v_mul_u32_u24_e32 v43, 0x10001, v43
	v_mul_u32_u24_e32 v91, 0x10001, v91
	s_delay_alu instid0(VALU_DEP_4)
	v_mul_u32_u24_e32 v44, 0x10001, v44
	v_mul_u32_u24_e32 v46, 0x10001, v46
	s_wait_alu 0xfffd
	v_cndmask_b32_e32 v25, 0x7f800000, v88, vcc_lo
	v_cmp_nlt_f32_e32 vcc_lo, 0x42b17218, v26
	v_lshrrev_b32_e32 v96, 16, v48
	v_and_b32_e32 v48, 0xffff, v48
	v_lshrrev_b32_e32 v97, 16, v49
	v_cvt_f16_f32_e32 v88, v25
	s_wait_alu 0xfffd
	v_cndmask_b32_e32 v26, 0x7f800000, v89, vcc_lo
	v_fmac_f32_e32 v33, v23, v25
	v_lshrrev_b32_e32 v23, 16, v38
	v_lshrrev_b32_e32 v25, 16, v39
	v_and_b32_e32 v88, 0xffff, v88
	v_cvt_f16_f32_e32 v89, v26
	v_fmac_f32_e32 v27, v24, v26
	v_and_b32_e32 v24, 0xffff, v38
	v_and_b32_e32 v26, 0xffff, v39
	v_mul_u32_u24_e32 v88, 0x10001, v88
	v_and_b32_e32 v89, 0xffff, v89
	v_mul_u32_u24_e32 v23, 0x10001, v23
	v_mul_u32_u24_e32 v24, 0x10001, v24
	v_and_b32_e32 v39, 0xffff, v40
	v_pk_mul_f16 v22, v22, v88
	v_mul_u32_u24_e32 v89, 0x10001, v89
	v_mul_u32_u24_e32 v26, 0x10001, v26
	v_pk_mul_f16 v102, v34, v24
	v_pk_mul_f16 v34, v34, v23
	v_pk_fma_f16 v22, v35, v24, v22
	v_pk_mul_f16 v14, v14, v89
	v_lshrrev_b32_e32 v38, 16, v40
	v_lshrrev_b32_e32 v40, 16, v41
	v_and_b32_e32 v41, 0xffff, v41
	v_mul_u32_u24_e32 v25, 0x10001, v25
	v_mul_u32_u24_e32 v39, 0x10001, v39
	v_pk_fma_f16 v14, v35, v23, v14
	v_pk_fma_f16 v21, v21, v88, v102
	v_pk_fma_f16 v11, v11, v89, v34
	v_pk_fma_f16 v22, v37, v26, v22
	v_mul_u32_u24_e32 v38, 0x10001, v38
	v_mul_u32_u24_e32 v41, 0x10001, v41
	v_pk_fma_f16 v14, v37, v25, v14
	v_pk_fma_f16 v21, v36, v26, v21
	v_pk_fma_f16 v11, v36, v25, v11
	v_pk_fma_f16 v22, v55, v39, v22
	v_mul_u32_u24_e32 v40, 0x10001, v40
	v_pk_fma_f16 v14, v55, v38, v14
	v_pk_fma_f16 v21, v54, v39, v21
	v_pk_fma_f16 v11, v54, v38, v11
	v_pk_fma_f16 v22, v57, v41, v22
	;; [unrolled: 5-line block ×4, first 2 shown]
	v_and_b32_e32 v49, 0xffff, v49
	v_pk_fma_f16 v14, v61, v91, v14
	v_pk_fma_f16 v21, v60, v43, v21
	v_pk_fma_f16 v11, v60, v91, v11
	v_pk_fma_f16 v22, v63, v44, v22
	v_mul_u32_u24_e32 v25, 0x10001, v95
	v_pk_fma_f16 v14, v63, v92, v14
	v_pk_fma_f16 v21, v62, v44, v21
	;; [unrolled: 1-line block ×4, first 2 shown]
	v_mul_u32_u24_e32 v26, 0x10001, v48
	v_pk_fma_f16 v14, v65, v93, v14
	v_pk_fma_f16 v21, v64, v45, v21
	v_pk_fma_f16 v11, v64, v93, v11
	v_pk_fma_f16 v22, v67, v46, v22
	v_lshrrev_b32_e32 v98, 16, v50
	v_pk_fma_f16 v14, v67, v24, v14
	v_pk_fma_f16 v21, v66, v46, v21
	;; [unrolled: 1-line block ×4, first 2 shown]
	v_and_b32_e32 v50, 0xffff, v50
	v_mul_u32_u24_e32 v34, 0x10001, v96
	v_mul_u32_u24_e32 v35, 0x10001, v49
	v_pk_fma_f16 v14, v69, v25, v14
	v_pk_fma_f16 v21, v68, v23, v21
	v_pk_fma_f16 v11, v68, v25, v11
	v_pk_fma_f16 v22, v71, v26, v22
	v_lshrrev_b32_e32 v99, 16, v51
	v_and_b32_e32 v51, 0xffff, v51
	v_mul_u32_u24_e32 v36, 0x10001, v97
	v_mul_u32_u24_e32 v37, 0x10001, v50
	v_pk_fma_f16 v14, v71, v34, v14
	v_pk_fma_f16 v21, v70, v26, v21
	v_pk_fma_f16 v11, v70, v34, v11
	v_pk_fma_f16 v22, v73, v35, v22
	v_lshrrev_b32_e32 v100, 16, v52
	;; [unrolled: 8-line block ×3, first 2 shown]
	v_and_b32_e32 v53, 0xffff, v53
	v_mul_u32_u24_e32 v23, 0x10001, v99
	v_mul_u32_u24_e32 v25, 0x10001, v52
	v_pk_fma_f16 v14, v75, v38, v14
	v_pk_fma_f16 v21, v74, v37, v21
	;; [unrolled: 1-line block ×4, first 2 shown]
	v_mul_u32_u24_e32 v26, 0x10001, v100
	v_mul_u32_u24_e32 v34, 0x10001, v53
	v_pk_fma_f16 v14, v77, v23, v14
	v_pk_fma_f16 v21, v76, v24, v21
	;; [unrolled: 1-line block ×4, first 2 shown]
	v_mul_u32_u24_e32 v35, 0x10001, v101
	v_pk_fma_f16 v14, v79, v26, v14
	v_pk_fma_f16 v25, v78, v25, v21
	;; [unrolled: 1-line block ×4, first 2 shown]
	s_delay_alu instid0(VALU_DEP_4) | instskip(NEXT) | instid1(VALU_DEP_4)
	v_pk_fma_f16 v14, v81, v35, v14
	v_pk_fma_f16 v25, v80, v34, v25
	s_delay_alu instid0(VALU_DEP_4)
	v_pk_fma_f16 v11, v80, v35, v11
	s_wait_loadcnt 0x0
	ds_store_b128 v18, v[82:85]
	s_wait_dscnt 0x0
	s_barrier_signal -1
	s_barrier_wait -1
	global_inv scope:SCOPE_SE
	ds_load_b128 v[21:24], v17 offset:64
	ds_load_2addr_b64 v[34:37], v86 offset1:32
	ds_load_b128 v[38:41], v17 offset:80
	ds_load_b128 v[42:45], v17 offset:96
	;; [unrolled: 1-line block ×3, first 2 shown]
	ds_load_2addr_b64 v[50:53], v86 offset0:64 offset1:96
	ds_load_2addr_b64 v[54:57], v86 offset0:128 offset1:160
	ds_load_2addr_b64 v[58:61], v86 offset0:192 offset1:224
	ds_load_2addr_b64 v[62:65], v87 offset1:32
	ds_load_2addr_b64 v[66:69], v87 offset0:64 offset1:96
	ds_load_2addr_b64 v[70:73], v87 offset0:128 offset1:160
	;; [unrolled: 1-line block ×3, first 2 shown]
	s_wait_loadcnt_dscnt 0x0
	s_barrier_signal -1
	s_barrier_wait -1
	global_inv scope:SCOPE_SE
	s_load_b32 s5, s[6:7], 0x4
	v_lshrrev_b32_e32 v82, 16, v38
	v_and_b32_e32 v38, 0xffff, v38
	v_lshrrev_b32_e32 v83, 16, v39
	v_and_b32_e32 v39, 0xffff, v39
	v_lshrrev_b32_e32 v84, 16, v40
	v_mul_u32_u24_e32 v82, 0x10001, v82
	v_mul_u32_u24_e32 v38, 0x10001, v38
	v_and_b32_e32 v40, 0xffff, v40
	v_lshrrev_b32_e32 v78, 16, v21
	v_and_b32_e32 v21, 0xffff, v21
	v_lshrrev_b32_e32 v79, 16, v22
	;; [unrolled: 2-line block ×3, first 2 shown]
	v_mul_u32_u24_e32 v78, 0x10001, v78
	v_mul_u32_u24_e32 v21, 0x10001, v21
	v_and_b32_e32 v23, 0xffff, v23
	v_mul_u32_u24_e32 v22, 0x10001, v22
	v_mul_u32_u24_e32 v79, 0x10001, v79
	v_pk_fma_f16 v11, v34, v78, v11
	v_pk_fma_f16 v25, v34, v21, v25
	v_pk_fma_f16 v21, v35, v21, v26
	v_pk_fma_f16 v14, v35, v78, v14
	v_lshrrev_b32_e32 v81, 16, v24
	v_and_b32_e32 v24, 0xffff, v24
	v_mul_u32_u24_e32 v23, 0x10001, v23
	v_mul_u32_u24_e32 v80, 0x10001, v80
	v_pk_fma_f16 v25, v36, v22, v25
	v_pk_fma_f16 v11, v36, v79, v11
	;; [unrolled: 1-line block ×4, first 2 shown]
	v_mul_u32_u24_e32 v24, 0x10001, v24
	v_mul_u32_u24_e32 v81, 0x10001, v81
	v_pk_fma_f16 v25, v50, v23, v25
	v_pk_fma_f16 v11, v50, v80, v11
	v_pk_fma_f16 v21, v51, v23, v21
	v_pk_fma_f16 v14, v51, v80, v14
	v_mul_u32_u24_e32 v39, 0x10001, v39
	v_pk_fma_f16 v25, v52, v24, v25
	v_pk_fma_f16 v11, v52, v81, v11
	v_pk_fma_f16 v21, v53, v24, v21
	v_pk_fma_f16 v14, v53, v81, v14
	;; [unrolled: 5-line block ×3, first 2 shown]
	v_lshrrev_b32_e32 v85, 16, v41
	v_and_b32_e32 v41, 0xffff, v41
	v_mul_u32_u24_e32 v40, 0x10001, v40
	v_mul_u32_u24_e32 v84, 0x10001, v84
	v_pk_fma_f16 v25, v56, v39, v25
	v_pk_fma_f16 v11, v56, v83, v11
	v_pk_fma_f16 v21, v57, v39, v21
	v_pk_fma_f16 v14, v57, v83, v14
	v_lshrrev_b32_e32 v86, 16, v42
	v_and_b32_e32 v42, 0xffff, v42
	v_mul_u32_u24_e32 v41, 0x10001, v41
	v_mul_u32_u24_e32 v85, 0x10001, v85
	v_pk_fma_f16 v25, v58, v40, v25
	v_pk_fma_f16 v11, v58, v84, v11
	v_pk_fma_f16 v21, v59, v40, v21
	v_pk_fma_f16 v14, v59, v84, v14
	;; [unrolled: 8-line block ×9, first 2 shown]
	v_mul_u32_u24_e32 v26, 0x10001, v49
	v_mul_u32_u24_e32 v34, 0x10001, v93
	v_pk_fma_f16 v22, v74, v23, v24
	v_pk_fma_f16 v11, v74, v25, v11
	;; [unrolled: 1-line block ×4, first 2 shown]
	s_wait_kmcnt 0x0
	s_lshl_b32 s5, s5, 5
	v_pk_fma_f16 v21, v76, v26, v22
	v_pk_fma_f16 v11, v76, v34, v11
	;; [unrolled: 1-line block ×4, first 2 shown]
	s_wait_alu 0xfffe
	s_add_co_i32 s4, s5, s4
	s_wait_alu 0xfffe
	s_cmp_ge_i32 s4, s30
	s_cbranch_scc1 .LBB22_23
; %bb.22:                               ;   in Loop: Header=BB22_13 Depth=1
	v_dual_mov_b32 v25, v3 :: v_dual_mov_b32 v26, v4
	v_dual_mov_b32 v23, v33 :: v_dual_mov_b32 v24, v27
	s_branch .LBB22_13
.LBB22_23:
	v_mov_b32_e32 v2, v7
.LBB22_24:
	v_cmp_lt_i32_e32 vcc_lo, v32, v8
	s_cmp_lg_u64 s[12:13], 0
	s_cselect_b32 s3, -1, 0
	s_cmp_eq_u32 s2, 0
	s_wait_alu 0xfffd
	v_cndmask_b32_e32 v5, v2, v32, vcc_lo
	v_cmp_lt_i32_e32 vcc_lo, v28, v8
	s_cselect_b32 s4, -1, 0
	s_wait_alu 0xfffe
	s_and_b32 s3, s4, s3
	v_lshlrev_b32_e32 v5, 2, v5
	s_wait_alu 0xfffd
	v_cndmask_b32_e32 v7, v2, v28, vcc_lo
	v_cmp_lt_i32_e32 vcc_lo, v29, v8
	ds_bpermute_b32 v6, v5, v33
	v_lshlrev_b32_e32 v7, 2, v7
	s_wait_alu 0xfffd
	v_cndmask_b32_e32 v13, v2, v29, vcc_lo
	v_cmp_lt_i32_e32 vcc_lo, v30, v8
	s_wait_dscnt 0x0
	s_delay_alu instid0(VALU_DEP_2)
	v_dual_add_f32 v6, v33, v6 :: v_dual_lshlrev_b32 v13, 2, v13
	ds_bpermute_b32 v12, v7, v6
	s_wait_dscnt 0x0
	v_add_f32_e32 v6, v6, v12
	ds_bpermute_b32 v5, v5, v27
	s_wait_dscnt 0x0
	v_add_f32_e32 v5, v27, v5
	;; [unrolled: 3-line block ×3, first 2 shown]
	ds_bpermute_b32 v7, v13, v6
	ds_bpermute_b32 v12, v13, v5
	s_wait_alu 0xfffd
	v_cndmask_b32_e32 v13, v2, v30, vcc_lo
	v_cmp_lt_i32_e32 vcc_lo, v31, v8
	s_wait_alu 0xfffd
	v_cndmask_b32_e32 v2, v2, v31, vcc_lo
	s_wait_alu 0xfffe
	s_and_b32 vcc_lo, exec_lo, s3
	s_delay_alu instid0(VALU_DEP_1)
	v_lshlrev_b32_e32 v2, 2, v2
	s_wait_dscnt 0x1
	v_dual_add_f32 v6, v6, v7 :: v_dual_lshlrev_b32 v13, 2, v13
	s_wait_dscnt 0x0
	v_add_f32_e32 v5, v5, v12
	ds_bpermute_b32 v7, v13, v6
	s_wait_dscnt 0x0
	v_add_f32_e32 v6, v6, v7
	ds_bpermute_b32 v12, v13, v5
	;; [unrolled: 3-line block ×3, first 2 shown]
	ds_bpermute_b32 v2, v2, v7
	s_wait_dscnt 0x0
	v_dual_add_f32 v5, v6, v5 :: v_dual_add_f32 v6, v7, v2
	s_wait_alu 0xfffe
	s_cbranch_vccz .LBB22_27
; %bb.25:
	v_dual_max_num_f32 v2, v3, v3 :: v_dual_add_nc_u32 v7, s33, v9
	v_max_num_f32_e32 v13, v4, v4
	s_delay_alu instid0(VALU_DEP_2) | instskip(NEXT) | instid1(VALU_DEP_1)
	v_ashrrev_i32_e32 v8, 31, v7
	v_lshlrev_b64_e32 v[7:8], 2, v[7:8]
	s_delay_alu instid0(VALU_DEP_1) | instskip(SKIP_1) | instid1(VALU_DEP_2)
	v_add_co_u32 v7, vcc_lo, s12, v7
	s_wait_alu 0xfffd
	v_add_co_ci_u32_e64 v8, null, s13, v8, vcc_lo
	global_load_b64 v[7:8], v[7:8], off
	s_wait_loadcnt 0x0
	v_max_num_f32_e32 v12, v7, v7
	s_delay_alu instid0(VALU_DEP_1) | instskip(NEXT) | instid1(VALU_DEP_1)
	v_max_num_f32_e32 v12, v2, v12
	v_sub_f32_e32 v2, v3, v12
	v_sub_f32_e32 v3, v7, v12
	s_delay_alu instid0(VALU_DEP_2) | instskip(NEXT) | instid1(VALU_DEP_1)
	v_mul_f32_e32 v7, 0x3fb8aa3b, v2
	v_fma_f32 v18, 0x3fb8aa3b, v2, -v7
	s_delay_alu instid0(VALU_DEP_1) | instskip(NEXT) | instid1(VALU_DEP_1)
	v_dual_max_num_f32 v15, v8, v8 :: v_dual_fmac_f32 v18, 0x32a5705f, v2
	v_max_num_f32_e32 v13, v13, v15
	s_delay_alu instid0(VALU_DEP_1) | instskip(SKIP_1) | instid1(VALU_DEP_2)
	v_dual_sub_f32 v4, v4, v13 :: v_dual_mul_f32 v15, 0x3fb8aa3b, v3
	v_cmp_ngt_f32_e32 vcc_lo, 0xc2ce8ed0, v2
	v_mul_f32_e32 v16, 0x3fb8aa3b, v4
	v_rndne_f32_e32 v19, v7
	v_sub_f32_e32 v8, v8, v13
	v_fma_f32 v20, 0x3fb8aa3b, v3, -v15
	v_rndne_f32_e32 v25, v15
	v_fma_f32 v23, 0x3fb8aa3b, v4, -v16
	v_rndne_f32_e32 v24, v16
	v_sub_f32_e32 v7, v7, v19
	s_delay_alu instid0(VALU_DEP_3) | instskip(NEXT) | instid1(VALU_DEP_2)
	v_dual_fmac_f32 v20, 0x32a5705f, v3 :: v_dual_fmac_f32 v23, 0x32a5705f, v4
	v_dual_sub_f32 v16, v16, v24 :: v_dual_add_f32 v7, v7, v18
	v_mul_f32_e32 v17, 0x3fb8aa3b, v8
	v_cvt_i32_f32_e32 v18, v19
	v_cvt_i32_f32_e32 v19, v24
	s_delay_alu instid0(VALU_DEP_4)
	v_add_f32_e32 v16, v16, v23
	v_exp_f32_e32 v7, v7
	v_fma_f32 v26, 0x3fb8aa3b, v8, -v17
	v_rndne_f32_e32 v27, v17
	v_sub_f32_e32 v15, v15, v25
	v_exp_f32_e32 v16, v16
	s_delay_alu instid0(VALU_DEP_3) | instskip(NEXT) | instid1(TRANS32_DEP_2)
	v_fmac_f32_e32 v26, 0x32a5705f, v8
	v_ldexp_f32 v7, v7, v18
	v_cvt_i32_f32_e32 v18, v27
	s_delay_alu instid0(TRANS32_DEP_1) | instskip(SKIP_1) | instid1(VALU_DEP_3)
	v_ldexp_f32 v16, v16, v19
	s_wait_alu 0xfffd
	v_cndmask_b32_e32 v7, 0, v7, vcc_lo
	v_cmp_ngt_f32_e32 vcc_lo, 0xc2ce8ed0, v4
	s_wait_alu 0xfffd
	v_dual_sub_f32 v17, v17, v27 :: v_dual_cndmask_b32 v16, 0, v16
	v_cmp_nlt_f32_e32 vcc_lo, 0x42b17218, v2
	v_add_f32_e32 v15, v15, v20
	v_cvt_i32_f32_e32 v20, v25
	s_wait_alu 0xfffd
	v_cndmask_b32_e32 v2, 0x7f800000, v7, vcc_lo
	s_delay_alu instid0(VALU_DEP_3) | instskip(SKIP_3) | instid1(VALU_DEP_1)
	v_exp_f32_e32 v15, v15
	v_cmp_nlt_f32_e32 vcc_lo, 0x42b17218, v4
	s_wait_alu 0xfffd
	v_dual_add_f32 v17, v17, v26 :: v_dual_cndmask_b32 v16, 0x7f800000, v16
	v_exp_f32_e32 v17, v17
	v_cmp_ngt_f32_e32 vcc_lo, 0xc2ce8ed0, v3
	s_delay_alu instid0(TRANS32_DEP_2) | instskip(SKIP_1) | instid1(VALU_DEP_1)
	v_ldexp_f32 v15, v15, v20
	s_wait_alu 0xfffd
	v_cndmask_b32_e32 v7, 0, v15, vcc_lo
	v_cmp_ngt_f32_e32 vcc_lo, 0xc2ce8ed0, v8
	s_delay_alu instid0(TRANS32_DEP_1) | instskip(SKIP_3) | instid1(VALU_DEP_3)
	v_ldexp_f32 v4, v17, v18
	v_cvt_f16_f32_e32 v15, v2
	v_cvt_f16_f32_e32 v17, v16
	s_wait_alu 0xfffd
	v_cndmask_b32_e32 v4, 0, v4, vcc_lo
	v_cmp_nlt_f32_e32 vcc_lo, 0x42b17218, v3
	s_wait_alu 0xfffd
	v_cndmask_b32_e32 v7, 0x7f800000, v7, vcc_lo
	v_cmp_nlt_f32_e32 vcc_lo, 0x42b17218, v8
	s_wait_alu 0xfffd
	v_cndmask_b32_e32 v8, 0x7f800000, v4, vcc_lo
	s_delay_alu instid0(VALU_DEP_1) | instskip(SKIP_1) | instid1(VALU_DEP_2)
	v_dual_fmac_f32 v8, v6, v16 :: v_dual_and_b32 v3, 0xffff, v15
	v_and_b32_e32 v15, 0xffff, v17
	v_dual_fmac_f32 v7, v5, v2 :: v_dual_mov_b32 v6, v8
	s_delay_alu instid0(VALU_DEP_3) | instskip(SKIP_1) | instid1(VALU_DEP_4)
	v_mul_u32_u24_e32 v2, 0x10001, v3
	v_dual_mov_b32 v3, v12 :: v_dual_mov_b32 v4, v13
	v_mul_u32_u24_e32 v12, 0x10001, v15
	s_delay_alu instid0(VALU_DEP_4) | instskip(NEXT) | instid1(VALU_DEP_4)
	v_mov_b32_e32 v5, v7
	v_pk_mul_f16 v21, v21, v2
	v_pk_mul_f16 v22, v22, v2
	s_delay_alu instid0(VALU_DEP_4)
	v_pk_mul_f16 v11, v11, v12
	v_pk_mul_f16 v14, v14, v12
	s_mov_b32 s3, exec_lo
	v_cmpx_gt_i32_e64 s22, v1
	s_cbranch_execnz .LBB22_28
.LBB22_26:
	s_nop 0
	s_sendmsg sendmsg(MSG_DEALLOC_VGPRS)
	s_endpgm
.LBB22_27:
	s_delay_alu instid0(VALU_DEP_1)
	v_dual_mov_b32 v8, v6 :: v_dual_mov_b32 v7, v5
	s_mov_b32 s3, exec_lo
	v_cmpx_gt_i32_e64 s22, v1
	s_cbranch_execz .LBB22_26
.LBB22_28:
	s_load_b32 s1, s[0:1], 0xd4
	v_mov_b32_e32 v12, 1.0
	s_wait_kmcnt 0x0
	s_cmp_lg_u32 s1, 1
	s_cselect_b32 s4, -1, 0
	s_cmp_eq_u32 s1, 1
	s_cselect_b32 s3, -1, 0
	s_wait_alu 0xfffe
	s_and_b32 vcc_lo, exec_lo, s4
	s_wait_alu 0xfffe
	s_cbranch_vccnz .LBB22_30
; %bb.29:
	v_div_scale_f32 v2, null, v5, v5, 1.0
	s_delay_alu instid0(VALU_DEP_1) | instskip(NEXT) | instid1(TRANS32_DEP_1)
	v_rcp_f32_e32 v12, v2
	v_fma_f32 v13, -v2, v12, 1.0
	s_delay_alu instid0(VALU_DEP_1) | instskip(SKIP_1) | instid1(VALU_DEP_1)
	v_fmac_f32_e32 v12, v13, v12
	v_div_scale_f32 v13, vcc_lo, 1.0, v5, 1.0
	v_mul_f32_e32 v15, v13, v12
	s_delay_alu instid0(VALU_DEP_1) | instskip(NEXT) | instid1(VALU_DEP_1)
	v_fma_f32 v16, -v2, v15, v13
	v_fmac_f32_e32 v15, v16, v12
	s_delay_alu instid0(VALU_DEP_1) | instskip(SKIP_1) | instid1(VALU_DEP_1)
	v_fma_f32 v2, -v2, v15, v13
	s_wait_alu 0xfffd
	v_div_fmas_f32 v2, v2, v12, v15
	s_delay_alu instid0(VALU_DEP_1)
	v_div_fixup_f32 v12, v2, v5, 1.0
.LBB22_30:
	v_mad_co_u64_u32 v[1:2], null, s28, s22, v[1:2]
	v_cvt_f32_f16_e32 v5, v21
	v_mov_b32_e32 v16, 0
	v_cmp_eq_u32_e32 vcc_lo, 0, v0
	v_lshrrev_b32_e32 v0, 16, v21
	v_mul_lo_u32 v1, v1, s23
	s_delay_alu instid0(VALU_DEP_2) | instskip(NEXT) | instid1(VALU_DEP_2)
	v_cvt_f32_f16_e32 v0, v0
	v_add3_u32 v1, s33, v9, v1
	v_cvt_f32_f16_e32 v9, v22
	s_delay_alu instid0(VALU_DEP_2) | instskip(SKIP_1) | instid1(VALU_DEP_3)
	v_mad_co_u64_u32 v[1:2], null, s1, v1, s[2:3]
	v_lshrrev_b32_e32 v2, 16, v22
	v_mul_f32_e32 v17, v12, v9
	s_delay_alu instid0(VALU_DEP_2) | instskip(NEXT) | instid1(VALU_DEP_4)
	v_cvt_f32_f16_e32 v2, v2
	v_lshl_add_u32 v15, v1, 7, v10
	s_delay_alu instid0(VALU_DEP_2) | instskip(NEXT) | instid1(VALU_DEP_2)
	v_mul_f32_e32 v18, v12, v2
	v_lshlrev_b64_e32 v[19:20], 2, v[15:16]
	v_mul_f32_e32 v15, v12, v5
	v_mul_f32_e32 v16, v12, v0
	s_delay_alu instid0(VALU_DEP_3) | instskip(SKIP_1) | instid1(VALU_DEP_4)
	v_add_co_u32 v12, s0, s16, v19
	s_wait_alu 0xf1ff
	v_add_co_ci_u32_e64 v13, null, s17, v20, s0
	s_and_b32 s0, vcc_lo, s4
	global_store_b128 v[12:13], v[15:18], off
	s_wait_alu 0xfffe
	s_and_saveexec_b32 s2, s0
	s_cbranch_execz .LBB22_32
; %bb.31:
	v_ashrrev_i32_e32 v2, 31, v1
	s_delay_alu instid0(VALU_DEP_1) | instskip(SKIP_1) | instid1(VALU_DEP_2)
	v_lshlrev_b64_e32 v[12:13], 3, v[1:2]
	v_dual_mov_b32 v2, v3 :: v_dual_mov_b32 v3, v7
	v_add_co_u32 v12, vcc_lo, s18, v12
	s_wait_alu 0xfffd
	s_delay_alu instid0(VALU_DEP_3)
	v_add_co_ci_u32_e64 v13, null, s19, v13, vcc_lo
	global_store_b64 v[12:13], v[2:3], off
.LBB22_32:
	s_wait_alu 0xfffe
	s_or_b32 exec_lo, exec_lo, s2
	v_mov_b32_e32 v2, 1.0
	s_and_not1_b32 vcc_lo, exec_lo, s3
	s_wait_alu 0xfffe
	s_cbranch_vccnz .LBB22_34
; %bb.33:
	v_div_scale_f32 v0, null, v6, v6, 1.0
	s_delay_alu instid0(VALU_DEP_1) | instskip(NEXT) | instid1(TRANS32_DEP_1)
	v_rcp_f32_e32 v2, v0
	v_fma_f32 v3, -v0, v2, 1.0
	s_delay_alu instid0(VALU_DEP_1) | instskip(SKIP_1) | instid1(VALU_DEP_1)
	v_fmac_f32_e32 v2, v3, v2
	v_div_scale_f32 v3, vcc_lo, 1.0, v6, 1.0
	v_mul_f32_e32 v5, v3, v2
	s_delay_alu instid0(VALU_DEP_1) | instskip(NEXT) | instid1(VALU_DEP_1)
	v_fma_f32 v7, -v0, v5, v3
	v_fmac_f32_e32 v5, v7, v2
	s_delay_alu instid0(VALU_DEP_1) | instskip(SKIP_1) | instid1(VALU_DEP_1)
	v_fma_f32 v0, -v0, v5, v3
	s_wait_alu 0xfffd
	v_div_fmas_f32 v0, v0, v2, v5
	s_delay_alu instid0(VALU_DEP_1)
	v_div_fixup_f32 v2, v0, v6, 1.0
.LBB22_34:
	v_cvt_f32_f16_e32 v7, v11
	v_add_nc_u32_e32 v0, s1, v1
	v_lshrrev_b32_e32 v1, 16, v11
	v_lshrrev_b32_e32 v3, 16, v14
	s_delay_alu instid0(VALU_DEP_4) | instskip(NEXT) | instid1(VALU_DEP_4)
	v_mul_f32_e32 v9, v2, v7
	v_lshl_add_u32 v5, v0, 7, v10
	v_cvt_f32_f16_e32 v10, v14
	v_mov_b32_e32 v6, 0
	v_cvt_f32_f16_e32 v1, v1
	v_cvt_f32_f16_e32 v3, v3
	s_delay_alu instid0(VALU_DEP_4) | instskip(NEXT) | instid1(VALU_DEP_4)
	v_mul_f32_e32 v11, v2, v10
	v_lshlrev_b64_e32 v[5:6], 2, v[5:6]
	s_delay_alu instid0(VALU_DEP_4) | instskip(NEXT) | instid1(VALU_DEP_4)
	v_mul_f32_e32 v10, v2, v1
	v_mul_f32_e32 v12, v2, v3
	s_delay_alu instid0(VALU_DEP_3) | instskip(SKIP_1) | instid1(VALU_DEP_4)
	v_add_co_u32 v1, vcc_lo, s16, v5
	s_wait_alu 0xfffd
	v_add_co_ci_u32_e64 v2, null, s17, v6, vcc_lo
	global_store_b128 v[1:2], v[9:12], off
	s_and_b32 exec_lo, exec_lo, s0
	s_cbranch_execz .LBB22_26
; %bb.35:
	v_ashrrev_i32_e32 v1, 31, v0
	v_mov_b32_e32 v7, v4
	s_delay_alu instid0(VALU_DEP_2) | instskip(NEXT) | instid1(VALU_DEP_1)
	v_lshlrev_b64_e32 v[0:1], 3, v[0:1]
	v_add_co_u32 v0, vcc_lo, s18, v0
	s_wait_alu 0xfffd
	s_delay_alu instid0(VALU_DEP_2)
	v_add_co_ci_u32_e64 v1, null, s19, v1, vcc_lo
	global_store_b64 v[0:1], v[7:8], off
	s_nop 0
	s_sendmsg sendmsg(MSG_DEALLOC_VGPRS)
	s_endpgm
	.section	.rodata,"a",@progbits
	.p2align	6, 0x0
	.amdhsa_kernel _ZL15flash_attn_tileILi192ELi128ELi2ELi8ELb1EEvPKcS1_S1_S1_S1_PKiPfP15HIP_vector_typeIfLj2EEffffjfiS5_IjLj3EEiiiiiiiiiiiliiliiiiil
		.amdhsa_group_segment_fixed_size 11776
		.amdhsa_private_segment_fixed_size 0
		.amdhsa_kernarg_size 464
		.amdhsa_user_sgpr_count 2
		.amdhsa_user_sgpr_dispatch_ptr 0
		.amdhsa_user_sgpr_queue_ptr 0
		.amdhsa_user_sgpr_kernarg_segment_ptr 1
		.amdhsa_user_sgpr_dispatch_id 0
		.amdhsa_user_sgpr_private_segment_size 0
		.amdhsa_wavefront_size32 1
		.amdhsa_uses_dynamic_stack 0
		.amdhsa_enable_private_segment 0
		.amdhsa_system_sgpr_workgroup_id_x 1
		.amdhsa_system_sgpr_workgroup_id_y 1
		.amdhsa_system_sgpr_workgroup_id_z 1
		.amdhsa_system_sgpr_workgroup_info 0
		.amdhsa_system_vgpr_workitem_id 1
		.amdhsa_next_free_vgpr 103
		.amdhsa_next_free_sgpr 43
		.amdhsa_reserve_vcc 1
		.amdhsa_float_round_mode_32 0
		.amdhsa_float_round_mode_16_64 0
		.amdhsa_float_denorm_mode_32 3
		.amdhsa_float_denorm_mode_16_64 3
		.amdhsa_fp16_overflow 0
		.amdhsa_workgroup_processor_mode 1
		.amdhsa_memory_ordered 1
		.amdhsa_forward_progress 1
		.amdhsa_inst_pref_size 69
		.amdhsa_round_robin_scheduling 0
		.amdhsa_exception_fp_ieee_invalid_op 0
		.amdhsa_exception_fp_denorm_src 0
		.amdhsa_exception_fp_ieee_div_zero 0
		.amdhsa_exception_fp_ieee_overflow 0
		.amdhsa_exception_fp_ieee_underflow 0
		.amdhsa_exception_fp_ieee_inexact 0
		.amdhsa_exception_int_div_zero 0
	.end_amdhsa_kernel
	.section	.text._ZL15flash_attn_tileILi192ELi128ELi2ELi8ELb1EEvPKcS1_S1_S1_S1_PKiPfP15HIP_vector_typeIfLj2EEffffjfiS5_IjLj3EEiiiiiiiiiiiliiliiiiil,"axG",@progbits,_ZL15flash_attn_tileILi192ELi128ELi2ELi8ELb1EEvPKcS1_S1_S1_S1_PKiPfP15HIP_vector_typeIfLj2EEffffjfiS5_IjLj3EEiiiiiiiiiiiliiliiiiil,comdat
.Lfunc_end22:
	.size	_ZL15flash_attn_tileILi192ELi128ELi2ELi8ELb1EEvPKcS1_S1_S1_S1_PKiPfP15HIP_vector_typeIfLj2EEffffjfiS5_IjLj3EEiiiiiiiiiiiliiliiiiil, .Lfunc_end22-_ZL15flash_attn_tileILi192ELi128ELi2ELi8ELb1EEvPKcS1_S1_S1_S1_PKiPfP15HIP_vector_typeIfLj2EEffffjfiS5_IjLj3EEiiiiiiiiiiiliiliiiiil
                                        ; -- End function
	.set _ZL15flash_attn_tileILi192ELi128ELi2ELi8ELb1EEvPKcS1_S1_S1_S1_PKiPfP15HIP_vector_typeIfLj2EEffffjfiS5_IjLj3EEiiiiiiiiiiiliiliiiiil.num_vgpr, 103
	.set _ZL15flash_attn_tileILi192ELi128ELi2ELi8ELb1EEvPKcS1_S1_S1_S1_PKiPfP15HIP_vector_typeIfLj2EEffffjfiS5_IjLj3EEiiiiiiiiiiiliiliiiiil.num_agpr, 0
	.set _ZL15flash_attn_tileILi192ELi128ELi2ELi8ELb1EEvPKcS1_S1_S1_S1_PKiPfP15HIP_vector_typeIfLj2EEffffjfiS5_IjLj3EEiiiiiiiiiiiliiliiiiil.numbered_sgpr, 43
	.set _ZL15flash_attn_tileILi192ELi128ELi2ELi8ELb1EEvPKcS1_S1_S1_S1_PKiPfP15HIP_vector_typeIfLj2EEffffjfiS5_IjLj3EEiiiiiiiiiiiliiliiiiil.num_named_barrier, 0
	.set _ZL15flash_attn_tileILi192ELi128ELi2ELi8ELb1EEvPKcS1_S1_S1_S1_PKiPfP15HIP_vector_typeIfLj2EEffffjfiS5_IjLj3EEiiiiiiiiiiiliiliiiiil.private_seg_size, 0
	.set _ZL15flash_attn_tileILi192ELi128ELi2ELi8ELb1EEvPKcS1_S1_S1_S1_PKiPfP15HIP_vector_typeIfLj2EEffffjfiS5_IjLj3EEiiiiiiiiiiiliiliiiiil.uses_vcc, 1
	.set _ZL15flash_attn_tileILi192ELi128ELi2ELi8ELb1EEvPKcS1_S1_S1_S1_PKiPfP15HIP_vector_typeIfLj2EEffffjfiS5_IjLj3EEiiiiiiiiiiiliiliiiiil.uses_flat_scratch, 0
	.set _ZL15flash_attn_tileILi192ELi128ELi2ELi8ELb1EEvPKcS1_S1_S1_S1_PKiPfP15HIP_vector_typeIfLj2EEffffjfiS5_IjLj3EEiiiiiiiiiiiliiliiiiil.has_dyn_sized_stack, 0
	.set _ZL15flash_attn_tileILi192ELi128ELi2ELi8ELb1EEvPKcS1_S1_S1_S1_PKiPfP15HIP_vector_typeIfLj2EEffffjfiS5_IjLj3EEiiiiiiiiiiiliiliiiiil.has_recursion, 0
	.set _ZL15flash_attn_tileILi192ELi128ELi2ELi8ELb1EEvPKcS1_S1_S1_S1_PKiPfP15HIP_vector_typeIfLj2EEffffjfiS5_IjLj3EEiiiiiiiiiiiliiliiiiil.has_indirect_call, 0
	.section	.AMDGPU.csdata,"",@progbits
; Kernel info:
; codeLenInByte = 8828
; TotalNumSgprs: 45
; NumVgprs: 103
; ScratchSize: 0
; MemoryBound: 0
; FloatMode: 240
; IeeeMode: 1
; LDSByteSize: 11776 bytes/workgroup (compile time only)
; SGPRBlocks: 0
; VGPRBlocks: 12
; NumSGPRsForWavesPerEU: 45
; NumVGPRsForWavesPerEU: 103
; Occupancy: 12
; WaveLimiterHint : 1
; COMPUTE_PGM_RSRC2:SCRATCH_EN: 0
; COMPUTE_PGM_RSRC2:USER_SGPR: 2
; COMPUTE_PGM_RSRC2:TRAP_HANDLER: 0
; COMPUTE_PGM_RSRC2:TGID_X_EN: 1
; COMPUTE_PGM_RSRC2:TGID_Y_EN: 1
; COMPUTE_PGM_RSRC2:TGID_Z_EN: 1
; COMPUTE_PGM_RSRC2:TIDIG_COMP_CNT: 1
	.section	.text._ZL15flash_attn_tileILi192ELi128ELi1ELi8ELb1EEvPKcS1_S1_S1_S1_PKiPfP15HIP_vector_typeIfLj2EEffffjfiS5_IjLj3EEiiiiiiiiiiiliiliiiiil,"axG",@progbits,_ZL15flash_attn_tileILi192ELi128ELi1ELi8ELb1EEvPKcS1_S1_S1_S1_PKiPfP15HIP_vector_typeIfLj2EEffffjfiS5_IjLj3EEiiiiiiiiiiiliiliiiiil,comdat
	.globl	_ZL15flash_attn_tileILi192ELi128ELi1ELi8ELb1EEvPKcS1_S1_S1_S1_PKiPfP15HIP_vector_typeIfLj2EEffffjfiS5_IjLj3EEiiiiiiiiiiiliiliiiiil ; -- Begin function _ZL15flash_attn_tileILi192ELi128ELi1ELi8ELb1EEvPKcS1_S1_S1_S1_PKiPfP15HIP_vector_typeIfLj2EEffffjfiS5_IjLj3EEiiiiiiiiiiiliiliiiiil
	.p2align	8
	.type	_ZL15flash_attn_tileILi192ELi128ELi1ELi8ELb1EEvPKcS1_S1_S1_S1_PKiPfP15HIP_vector_typeIfLj2EEffffjfiS5_IjLj3EEiiiiiiiiiiiliiliiiiil,@function
_ZL15flash_attn_tileILi192ELi128ELi1ELi8ELb1EEvPKcS1_S1_S1_S1_PKiPfP15HIP_vector_typeIfLj2EEffffjfiS5_IjLj3EEiiiiiiiiiiiliiliiiiil: ; @_ZL15flash_attn_tileILi192ELi128ELi1ELi8ELb1EEvPKcS1_S1_S1_S1_PKiPfP15HIP_vector_typeIfLj2EEffffjfiS5_IjLj3EEiiiiiiiiiiiliiliiiiil
; %bb.0:
	s_clause 0x1
	s_load_b128 s[20:23], s[0:1], 0x5c
	s_load_b64 s[30:31], s[0:1], 0x80
	s_lshr_b32 s5, ttmp7, 16
	s_mov_b32 s37, 0
	s_mov_b64 s[34:35], 0
	s_wait_kmcnt 0x0
	s_ashr_i32 s2, s23, 31
	s_delay_alu instid0(SALU_CYCLE_1) | instskip(NEXT) | instid1(SALU_CYCLE_1)
	s_lshr_b32 s2, s2, 29
	s_add_co_i32 s2, s23, s2
	s_delay_alu instid0(SALU_CYCLE_1) | instskip(NEXT) | instid1(SALU_CYCLE_1)
	s_ashr_i32 s2, s2, 3
	s_cvt_f32_u32 s3, s2
	s_sub_co_i32 s4, 0, s2
	s_delay_alu instid0(SALU_CYCLE_2) | instskip(NEXT) | instid1(TRANS32_DEP_1)
	v_rcp_iflag_f32_e32 v1, s3
	v_readfirstlane_b32 s3, v1
	s_mul_f32 s3, s3, 0x4f7ffffe
	s_wait_alu 0xfffe
	s_delay_alu instid0(SALU_CYCLE_2) | instskip(SKIP_1) | instid1(SALU_CYCLE_2)
	s_cvt_u32_f32 s3, s3
	s_wait_alu 0xfffe
	s_mul_i32 s4, s4, s3
	s_delay_alu instid0(SALU_CYCLE_1) | instskip(NEXT) | instid1(SALU_CYCLE_1)
	s_mul_hi_u32 s4, s3, s4
	s_add_co_i32 s3, s3, s4
	s_wait_alu 0xfffe
	s_mul_hi_u32 s3, s5, s3
	s_wait_alu 0xfffe
	s_mul_i32 s4, s3, s2
	s_add_co_i32 s6, s3, 1
	s_sub_co_i32 s4, s5, s4
	s_delay_alu instid0(SALU_CYCLE_1)
	s_sub_co_i32 s7, s4, s2
	s_cmp_ge_u32 s4, s2
	s_cselect_b32 s3, s6, s3
	s_cselect_b32 s4, s7, s4
	s_wait_alu 0xfffe
	s_add_co_i32 s6, s3, 1
	s_cmp_ge_u32 s4, s2
	s_cselect_b32 s28, s6, s3
	s_abs_i32 s2, s31
	s_abs_i32 s7, s23
	s_wait_alu 0xfffe
	s_cvt_f32_u32 s3, s2
	s_sub_co_i32 s4, 0, s2
	s_lshl_b32 s5, s5, 3
	s_mul_i32 s6, s28, s23
	s_wait_alu 0xfffe
	v_rcp_iflag_f32_e32 v1, s3
	s_sub_co_i32 s33, s5, s6
	s_delay_alu instid0(TRANS32_DEP_1) | instskip(SKIP_2) | instid1(SALU_CYCLE_2)
	v_readfirstlane_b32 s3, v1
	s_mul_f32 s3, s3, 0x4f7ffffe
	s_wait_alu 0xfffe
	s_cvt_u32_f32 s3, s3
	s_wait_alu 0xfffe
	s_delay_alu instid0(SALU_CYCLE_2) | instskip(NEXT) | instid1(SALU_CYCLE_1)
	s_mul_i32 s4, s4, s3
	s_mul_hi_u32 s4, s3, s4
	s_delay_alu instid0(SALU_CYCLE_1)
	s_add_co_i32 s3, s3, s4
	s_xor_b32 s4, s23, s31
	s_wait_alu 0xfffe
	s_mul_hi_u32 s3, s7, s3
	s_ashr_i32 s24, s4, 31
	s_wait_alu 0xfffe
	s_mul_i32 s5, s3, s2
	s_delay_alu instid0(SALU_CYCLE_1)
	s_sub_co_i32 s4, s7, s5
	s_add_co_i32 s5, s3, 1
	s_sub_co_i32 s6, s4, s2
	s_cmp_ge_u32 s4, s2
	s_cselect_b32 s3, s5, s3
	s_cselect_b32 s4, s6, s4
	s_wait_alu 0xfffe
	s_add_co_i32 s5, s3, 1
	s_cmp_ge_u32 s4, s2
	s_cselect_b32 s2, s5, s3
	s_load_b512 s[4:19], s[0:1], 0x0
	s_xor_b32 s2, s2, s24
	s_wait_alu 0xfffe
	s_sub_co_i32 s39, s2, s24
	s_load_b64 s[2:3], s[0:1], 0xb8
	s_abs_i32 s38, s39
	s_delay_alu instid0(SALU_CYCLE_1) | instskip(NEXT) | instid1(SALU_CYCLE_3)
	s_cvt_f32_u32 s24, s38
	v_rcp_iflag_f32_e32 v1, s24
	s_wait_kmcnt 0x0
	s_cmp_eq_u64 s[10:11], 0
	s_delay_alu instid0(TRANS32_DEP_1)
	v_readfirstlane_b32 s24, v1
	s_cbranch_scc1 .LBB23_2
; %bb.1:
	s_abs_i32 s2, s2
	s_wait_alu 0xfffe
	s_cvt_f32_u32 s25, s2
	s_sub_co_i32 s26, 0, s2
	s_wait_alu 0xfffe
	s_delay_alu instid0(SALU_CYCLE_1) | instskip(NEXT) | instid1(TRANS32_DEP_1)
	v_rcp_iflag_f32_e32 v1, s25
	v_readfirstlane_b32 s25, v1
	s_mul_f32 s25, s25, 0x4f7ffffe
	s_wait_alu 0xfffe
	s_delay_alu instid0(SALU_CYCLE_2) | instskip(SKIP_1) | instid1(SALU_CYCLE_2)
	s_cvt_u32_f32 s25, s25
	s_wait_alu 0xfffe
	s_mul_i32 s26, s26, s25
	s_delay_alu instid0(SALU_CYCLE_1)
	s_mul_hi_u32 s29, s25, s26
	s_load_b64 s[26:27], s[0:1], 0xc8
	s_add_co_i32 s25, s25, s29
	s_wait_alu 0xfffe
	s_mul_hi_u32 s25, s28, s25
	s_wait_alu 0xfffe
	s_mul_i32 s25, s25, s2
	s_wait_alu 0xfffe
	s_sub_co_i32 s25, s28, s25
	s_wait_alu 0xfffe
	s_sub_co_i32 s29, s25, s2
	s_cmp_ge_u32 s25, s2
	s_cselect_b32 s25, s29, s25
	s_wait_alu 0xfffe
	s_sub_co_i32 s29, s25, s2
	s_cmp_ge_u32 s25, s2
	s_cselect_b32 s34, s29, s25
	s_delay_alu instid0(SALU_CYCLE_1) | instskip(SKIP_2) | instid1(SALU_CYCLE_1)
	s_ashr_i32 s35, s34, 31
	s_wait_kmcnt 0x0
	s_mul_u64 s[26:27], s[26:27], s[34:35]
	s_add_nc_u64 s[34:35], s[10:11], s[26:27]
.LBB23_2:
	v_lshrrev_b32_e32 v1, 10, v0
	s_load_b96 s[40:42], s[0:1], 0x70
	v_bfe_u32 v4, v0, 10, 10
	v_and_b32_e32 v0, 0x3ff, v0
	s_delay_alu instid0(VALU_DEP_3) | instskip(NEXT) | instid1(VALU_DEP_2)
	v_bfe_u32 v1, v1, 2, 8
	v_lshlrev_b32_e32 v17, 3, v0
	s_delay_alu instid0(VALU_DEP_2) | instskip(NEXT) | instid1(VALU_DEP_1)
	v_add_nc_u32_e32 v1, ttmp9, v1
	v_mul_hi_u32 v2, s20, v1
	s_wait_kmcnt 0x0
	s_mul_i32 s20, s33, s41
	s_ashr_i32 s27, s41, 31
	s_delay_alu instid0(VALU_DEP_1) | instskip(SKIP_2) | instid1(SALU_CYCLE_1)
	v_add_nc_u32_e32 v2, v1, v2
	s_mov_b32 s26, s41
	s_ashr_i32 s41, s40, 31
	s_lshr_b64 s[10:11], s[40:41], 2
	s_delay_alu instid0(VALU_DEP_1) | instskip(SKIP_3) | instid1(VALU_DEP_1)
	v_lshrrev_b32_e32 v2, s21, v2
	s_lshr_b32 s2, s41, 2
	s_wait_alu 0xfffe
	s_ashr_i32 s21, s20, 31
	v_mul_lo_u32 v2, v2, s22
	s_delay_alu instid0(VALU_DEP_1) | instskip(NEXT) | instid1(VALU_DEP_1)
	v_sub_nc_u32_e32 v5, v1, v2
	v_mad_co_u64_u32 v[2:3], null, s10, v5, 0
	s_lshr_b64 s[10:11], s[26:27], 2
	s_mul_i32 s26, s28, s42
	v_mad_co_u64_u32 v[9:10], null, s2, v5, v[3:4]
	v_lshlrev_b32_e32 v6, 1, v4
	s_lshr_b32 s2, s27, 2
	s_ashr_i32 s27, s26, 31
	s_delay_alu instid0(SALU_CYCLE_1) | instskip(SKIP_2) | instid1(VALU_DEP_2)
	s_add_nc_u64 s[4:5], s[4:5], s[26:27]
	s_wait_alu 0xfffe
	s_add_nc_u64 s[4:5], s[4:5], s[20:21]
	v_dual_mov_b32 v3, v9 :: v_dual_and_b32 v16, 6, v6
	s_delay_alu instid0(VALU_DEP_1) | instskip(NEXT) | instid1(VALU_DEP_2)
	v_lshlrev_b64_e32 v[2:3], 2, v[2:3]
	v_mad_co_u64_u32 v[7:8], null, s10, v16, 0
	s_delay_alu instid0(VALU_DEP_2) | instskip(NEXT) | instid1(VALU_DEP_1)
	v_add_co_u32 v10, vcc_lo, s4, v2
	v_add_co_ci_u32_e64 v11, null, s5, v3, vcc_lo
	s_delay_alu instid0(VALU_DEP_3) | instskip(SKIP_2) | instid1(VALU_DEP_1)
	v_mad_co_u64_u32 v[8:9], null, s2, v16, v[8:9]
	v_lshlrev_b32_e32 v9, 4, v0
	s_load_b32 s4, s[0:1], 0x40
	v_add_co_u32 v9, vcc_lo, v10, v9
	s_delay_alu instid0(VALU_DEP_3) | instskip(SKIP_2) | instid1(VALU_DEP_2)
	v_lshlrev_b64_e32 v[2:3], 2, v[7:8]
	s_wait_alu 0xfffd
	v_add_co_ci_u32_e64 v10, null, 0, v11, vcc_lo
	v_add_co_u32 v2, vcc_lo, v9, v2
	s_wait_alu 0xfffd
	s_delay_alu instid0(VALU_DEP_2)
	v_add_co_ci_u32_e64 v3, null, v10, v3, vcc_lo
	v_cmp_gt_u32_e32 vcc_lo, 16, v0
	global_load_b128 v[11:14], v[2:3], off
	s_wait_loadcnt 0x0
	s_wait_kmcnt 0x0
	v_fma_mixlo_f16 v7, s4, v12, 0
	v_fma_mixlo_f16 v8, s4, v11, 0
	;; [unrolled: 1-line block ×4, first 2 shown]
	s_delay_alu instid0(VALU_DEP_4) | instskip(NEXT) | instid1(VALU_DEP_4)
	v_lshlrev_b32_e32 v7, 16, v7
	v_and_b32_e32 v13, 0xffff, v8
	v_add_nc_u32_e32 v8, 0x1200, v17
	s_delay_alu instid0(VALU_DEP_4) | instskip(SKIP_1) | instid1(VALU_DEP_4)
	v_lshlrev_b32_e32 v12, 16, v12
	v_and_b32_e32 v11, 0xffff, v11
	v_or_b32_e32 v13, v7, v13
	v_mul_u32_u24_e32 v7, 0x300, v4
	v_mad_u32_u24 v14, 0x300, v4, v8
	s_delay_alu instid0(VALU_DEP_4) | instskip(NEXT) | instid1(VALU_DEP_4)
	v_or3_b32 v12, v12, v11, 0
	v_or3_b32 v11, 0, 0, v13
	ds_store_b64 v14, v[11:12]
	s_and_saveexec_b32 s2, vcc_lo
	s_cbranch_execz .LBB23_4
; %bb.3:
	global_load_b128 v[11:14], v[2:3], off offset:512
	s_wait_loadcnt 0x0
	v_fma_mixlo_f16 v2, s4, v12, 0
	v_fma_mixlo_f16 v3, s4, v11, 0
	;; [unrolled: 1-line block ×4, first 2 shown]
	s_delay_alu instid0(VALU_DEP_4) | instskip(NEXT) | instid1(VALU_DEP_4)
	v_lshlrev_b32_e32 v2, 16, v2
	v_and_b32_e32 v3, 0xffff, v3
	s_delay_alu instid0(VALU_DEP_4) | instskip(NEXT) | instid1(VALU_DEP_4)
	v_and_b32_e32 v11, 0xffff, v11
	v_lshlrev_b32_e32 v12, 16, v12
	s_delay_alu instid0(VALU_DEP_3) | instskip(NEXT) | instid1(VALU_DEP_2)
	v_or_b32_e32 v2, v2, v3
	v_or3_b32 v3, v12, v11, 0
	v_add_nc_u32_e32 v11, v8, v7
	s_delay_alu instid0(VALU_DEP_3)
	v_or3_b32 v2, 0, 0, v2
	ds_store_b64 v11, v[2:3] offset:256
.LBB23_4:
	s_wait_alu 0xfffe
	s_or_b32 exec_lo, exec_lo, s2
	v_or_b32_e32 v11, 1, v6
	s_delay_alu instid0(VALU_DEP_1) | instskip(NEXT) | instid1(VALU_DEP_1)
	v_and_b32_e32 v12, 7, v11
	v_mad_co_u64_u32 v[2:3], null, s10, v12, 0
	s_delay_alu instid0(VALU_DEP_1) | instskip(NEXT) | instid1(VALU_DEP_1)
	v_mad_co_u64_u32 v[12:13], null, s11, v12, v[3:4]
	v_mov_b32_e32 v3, v12
	s_delay_alu instid0(VALU_DEP_1) | instskip(NEXT) | instid1(VALU_DEP_1)
	v_lshlrev_b64_e32 v[2:3], 2, v[2:3]
	v_add_co_u32 v2, s2, v9, v2
	s_wait_alu 0xf1ff
	s_delay_alu instid0(VALU_DEP_2)
	v_add_co_ci_u32_e64 v3, null, v10, v3, s2
	global_load_b128 v[12:15], v[2:3], off
	s_wait_loadcnt 0x0
	v_fma_mixlo_f16 v9, s4, v13, 0
	v_fma_mixlo_f16 v10, s4, v12, 0
	;; [unrolled: 1-line block ×4, first 2 shown]
	v_mad_u32_u24 v14, 0x180, v11, v8
	v_lshlrev_b32_e32 v9, 16, v9
	v_and_b32_e32 v10, 0xffff, v10
	v_and_b32_e32 v12, 0xffff, v12
	v_lshlrev_b32_e32 v13, 16, v13
	s_delay_alu instid0(VALU_DEP_3) | instskip(NEXT) | instid1(VALU_DEP_2)
	v_or_b32_e32 v9, v9, v10
	v_or3_b32 v10, v13, v12, 0
	s_delay_alu instid0(VALU_DEP_2)
	v_or3_b32 v9, 0, 0, v9
	ds_store_b64 v14, v[9:10]
	s_and_saveexec_b32 s2, vcc_lo
	s_cbranch_execz .LBB23_6
; %bb.5:
	global_load_b128 v[12:15], v[2:3], off offset:512
	v_mul_u32_u24_e32 v11, 0x180, v11
	s_delay_alu instid0(VALU_DEP_1)
	v_add_nc_u32_e32 v8, v8, v11
	s_wait_loadcnt 0x0
	v_fma_mixlo_f16 v2, s4, v13, 0
	v_fma_mixlo_f16 v3, s4, v12, 0
	;; [unrolled: 1-line block ×4, first 2 shown]
	s_delay_alu instid0(VALU_DEP_4) | instskip(NEXT) | instid1(VALU_DEP_4)
	v_lshlrev_b32_e32 v2, 16, v2
	v_and_b32_e32 v3, 0xffff, v3
	s_delay_alu instid0(VALU_DEP_4) | instskip(NEXT) | instid1(VALU_DEP_4)
	v_and_b32_e32 v9, 0xffff, v9
	v_lshlrev_b32_e32 v10, 16, v10
	s_delay_alu instid0(VALU_DEP_3) | instskip(NEXT) | instid1(VALU_DEP_2)
	v_or_b32_e32 v2, v2, v3
	v_or3_b32 v3, v10, v9, 0
	s_delay_alu instid0(VALU_DEP_2)
	v_or3_b32 v2, 0, 0, v2
	ds_store_b64 v8, v[2:3] offset:256
.LBB23_6:
	s_wait_alu 0xfffe
	s_or_b32 exec_lo, exec_lo, s2
	s_cmp_eq_u64 s[14:15], 0
	s_wait_dscnt 0x0
	s_barrier_signal -1
	s_barrier_wait -1
	global_inv scope:SCOPE_SE
	s_cbranch_scc1 .LBB23_8
; %bb.7:
	s_load_b32 s2, s[0:1], 0xd0
	s_mov_b32 s5, 0
	s_wait_kmcnt 0x0
	s_mul_i32 s2, s2, s28
	s_wait_alu 0xfffe
	s_add_co_i32 s4, s2, ttmp9
	s_wait_alu 0xfffe
	s_lshl_b64 s[4:5], s[4:5], 2
	s_wait_alu 0xfffe
	s_add_nc_u64 s[4:5], s[14:15], s[4:5]
	s_load_b32 s30, s[4:5], 0x0
.LBB23_8:
	s_and_b32 s2, ttmp7, 0xffff
	v_mbcnt_lo_u32_b32 v18, -1, 0
	s_wait_alu 0xfffe
	s_lshl_b32 s4, s2, 5
	s_wait_kmcnt 0x0
	s_wait_alu 0xfffe
	s_cmp_lt_i32 s4, s30
	s_cbranch_scc1 .LBB23_11
; %bb.9:
	v_mbcnt_lo_u32_b32 v2, -1, 0
	v_mov_b32_e32 v19, 32
	s_delay_alu instid0(VALU_DEP_2)
	v_xor_b32_e32 v39, 16, v2
	v_xor_b32_e32 v13, 8, v2
	;; [unrolled: 1-line block ×5, first 2 shown]
	v_lshlrev_b32_e32 v15, 2, v0
	s_mov_b32 s29, 0
	s_cbranch_execz .LBB23_12
; %bb.10:
	v_dual_mov_b32 v27, 0 :: v_dual_mov_b32 v40, 0
	v_dual_mov_b32 v12, 0xfeffffff :: v_dual_mov_b32 v11, 0xfeffffff
	;; [unrolled: 1-line block ×4, first 2 shown]
	s_branch .LBB23_24
.LBB23_11:
                                        ; implicit-def: $vgpr2
                                        ; implicit-def: $vgpr19
                                        ; implicit-def: $vgpr39
                                        ; implicit-def: $vgpr13
                                        ; implicit-def: $vgpr14
                                        ; implicit-def: $vgpr37
                                        ; implicit-def: $vgpr38
	v_lshlrev_b32_e32 v15, 2, v0
	s_mov_b32 s29, 0
.LBB23_12:
	s_mul_f32 s5, s24, 0x4f7ffffe
	s_clause 0x1
	s_load_b128 s[24:27], s[0:1], 0x98
	s_load_b64 s[14:15], s[0:1], 0x8c
	s_sub_co_i32 s10, 0, s38
	v_lshrrev_b32_e32 v2, 3, v0
	s_cvt_u32_f32 s5, s5
	v_lshrrev_b32_e32 v3, 4, v0
	s_abs_i32 s36, s33
	s_mov_b32 s11, s37
	s_wait_alu 0xfffe
	s_mul_i32 s10, s10, s5
	v_lshl_add_u32 v2, v4, 2, v2
	s_wait_alu 0xfffe
	s_mul_hi_u32 s10, s5, s10
	v_add_nc_u32_e32 v3, v3, v6
	s_wait_alu 0xfffe
	s_add_co_i32 s10, s5, s10
	s_clause 0x1
	s_load_b32 s31, s[0:1], 0x54
	s_load_b64 s[20:21], s[0:1], 0xa8
	s_mul_u64 s[10:11], s[36:37], s[10:11]
	v_dual_mov_b32 v21, 0 :: v_dual_and_b32 v14, 28, v15
	s_wait_alu 0xfffe
	s_mul_i32 s37, s11, s38
	s_ashr_i32 s40, s33, 31
	s_wait_kmcnt 0x0
	s_ashr_i32 s10, s26, 2
	s_ashr_i32 s14, s14, 2
	s_wait_alu 0xfffe
	v_mul_lo_u32 v12, s10, v3
	v_mul_lo_u32 v8, s14, v2
	s_ashr_i32 s5, s39, 31
	s_sub_co_i32 s26, s36, s37
	s_ashr_i32 s3, s3, 1
	s_wait_alu 0xfffe
	s_xor_b32 s5, s40, s5
	s_add_co_i32 s39, s11, 1
	s_sub_co_i32 s36, s26, s38
	v_lshlrev_b32_e32 v9, 2, v14
	v_dual_mov_b32 v35, 0xfeffffff :: v_dual_and_b32 v20, 60, v15
	s_cmp_ge_u32 s26, s38
	v_lshl_add_u32 v10, s14, 4, v8
	s_cselect_b32 s11, s39, s11
	s_cselect_b32 s26, s36, s26
	v_lshl_add_u32 v32, s10, 3, v12
	s_wait_alu 0xfffe
	s_add_co_i32 s36, s11, 1
	v_mad_u32_u24 v22, 0x90, v2, v9
	v_dual_mov_b32 v19, 32 :: v_dual_lshlrev_b32 v2, 2, v20
	s_cmp_ge_u32 s26, s38
	v_ashrrev_i32_e32 v9, 31, v8
	s_cselect_b32 s11, s36, s11
	v_ashrrev_i32_e32 v11, 31, v10
	v_ashrrev_i32_e32 v13, 31, v12
	;; [unrolled: 1-line block ×3, first 2 shown]
	s_wait_alu 0xfffe
	s_xor_b32 s11, s11, s5
	v_lshl_or_b32 v26, v3, 8, v2
	s_mul_u64 s[24:25], s[24:25], s[28:29]
	s_mul_u64 s[20:21], s[20:21], s[28:29]
	s_wait_alu 0xfffe
	s_sub_co_i32 s5, s11, s5
	v_mad_co_u64_u32 v[2:3], null, v5, s3, v[0:1]
	s_add_nc_u64 s[6:7], s[6:7], s[24:25]
	s_wait_alu 0xfffe
	s_mul_i32 s24, s5, s15
	s_add_nc_u64 s[8:9], s[8:9], s[20:21]
	s_mul_i32 s20, s5, s27
	v_add_nc_u32_e32 v25, 0x1200, v7
	v_lshl_add_u32 v28, v4, 7, 0x1e00
	v_lshlrev_b64_e32 v[3:4], 2, v[8:9]
	v_lshlrev_b64_e32 v[5:6], 2, v[10:11]
	;; [unrolled: 1-line block ×4, first 2 shown]
	v_dual_mov_b32 v34, 0 :: v_dual_add_nc_u32 v23, 0x900, v22
	v_mul_u32_u24_e32 v24, 0x90, v0
	v_add_nc_u32_e32 v29, 0x800, v26
	v_dual_mov_b32 v27, 0 :: v_dual_lshlrev_b32 v30, 2, v14
	v_dual_mov_b32 v36, 0xfeffffff :: v_dual_lshlrev_b32 v31, 2, v20
	v_mov_b32_e32 v20, 0
	v_dual_mov_b32 v32, 0 :: v_dual_mov_b32 v33, 0
	s_wait_alu 0xfffe
	s_ashr_i32 s25, s24, 31
	s_ashr_i32 s21, s20, 31
	s_wait_alu 0xfffe
	s_add_nc_u64 s[6:7], s[6:7], s[24:25]
	s_add_nc_u64 s[8:9], s[8:9], s[20:21]
	s_ashr_i32 s15, s14, 31
	s_ashr_i32 s11, s10, 31
	s_add_nc_u64 s[20:21], s[0:1], 0xd0
	s_mov_b32 s3, 0xbbbac73d
.LBB23_13:                              ; =>This Inner Loop Header: Depth=1
	s_ashr_i32 s5, s4, 31
	s_wait_alu 0xfffe
	s_mul_u64 s[24:25], s[4:5], s[14:15]
	s_wait_alu 0xfffe
	s_lshl_b64 s[24:25], s[24:25], 2
	s_wait_alu 0xfffe
	s_add_nc_u64 s[24:25], s[6:7], s[24:25]
	s_wait_alu 0xfffe
	v_add_co_u32 v11, vcc_lo, s24, v3
	s_wait_alu 0xfffd
	v_add_co_ci_u32_e64 v12, null, s25, v4, vcc_lo
	v_add_co_u32 v13, vcc_lo, s24, v5
	s_wait_alu 0xfffd
	v_add_co_ci_u32_e64 v14, null, s25, v6, vcc_lo
	;; [unrolled: 3-line block ×4, first 2 shown]
	s_clause 0x1
	global_load_b128 v[37:40], v[11:12], off
	global_load_b128 v[41:44], v[13:14], off
	s_wait_loadcnt 0x1
	ds_store_b128 v22, v[37:40]
	s_wait_loadcnt 0x0
	ds_store_b128 v23, v[41:44]
	s_wait_dscnt 0x0
	s_barrier_signal -1
	s_barrier_wait -1
	global_inv scope:SCOPE_SE
	ds_load_b128 v[41:44], v24
	ds_load_b128 v[45:48], v25
	ds_load_b128 v[49:52], v25 offset:384
	v_dual_mov_b32 v37, 0 :: v_dual_mov_b32 v40, 0
	v_add_nc_u32_e32 v38, s4, v2
	s_wait_dscnt 0x1
	;;#ASMSTART
	v_dot2_f32_f16 v37, v41, v45, v37
	;;#ASMEND
	;;#ASMSTART
	v_dot2_f32_f16 v37, v42, v46, v37
	;;#ASMEND
	;; [unrolled: 3-line block ×4, first 2 shown]
	s_wait_dscnt 0x0
	;;#ASMSTART
	v_dot2_f32_f16 v40, v41, v49, v40
	;;#ASMEND
	;;#ASMSTART
	v_dot2_f32_f16 v40, v42, v50, v40
	;;#ASMEND
	;;#ASMSTART
	v_dot2_f32_f16 v40, v43, v51, v40
	;;#ASMEND
	;;#ASMSTART
	v_dot2_f32_f16 v40, v44, v52, v40
	;;#ASMEND
	ds_load_b128 v[41:44], v24 offset:16
	ds_load_b128 v[45:48], v25 offset:16
	;; [unrolled: 1-line block ×3, first 2 shown]
	v_ashrrev_i32_e32 v39, 31, v38
	s_wait_dscnt 0x1
	;;#ASMSTART
	v_dot2_f32_f16 v37, v41, v45, v37
	;;#ASMEND
	;;#ASMSTART
	v_dot2_f32_f16 v37, v42, v46, v37
	;;#ASMEND
	;; [unrolled: 3-line block ×4, first 2 shown]
	s_wait_dscnt 0x0
	;;#ASMSTART
	v_dot2_f32_f16 v40, v41, v49, v40
	;;#ASMEND
	;;#ASMSTART
	v_dot2_f32_f16 v40, v42, v50, v40
	;;#ASMEND
	;;#ASMSTART
	v_dot2_f32_f16 v40, v43, v51, v40
	;;#ASMEND
	;;#ASMSTART
	v_dot2_f32_f16 v40, v44, v52, v40
	;;#ASMEND
	ds_load_b128 v[41:44], v24 offset:32
	ds_load_b128 v[45:48], v25 offset:32
	;; [unrolled: 1-line block ×3, first 2 shown]
	v_lshlrev_b64_e32 v[38:39], 1, v[38:39]
	s_wait_dscnt 0x1
	;;#ASMSTART
	v_dot2_f32_f16 v37, v41, v45, v37
	;;#ASMEND
	;;#ASMSTART
	v_dot2_f32_f16 v37, v42, v46, v37
	;;#ASMEND
	;; [unrolled: 3-line block ×4, first 2 shown]
	s_wait_dscnt 0x0
	;;#ASMSTART
	v_dot2_f32_f16 v40, v41, v49, v40
	;;#ASMEND
	;;#ASMSTART
	v_dot2_f32_f16 v40, v42, v50, v40
	;;#ASMEND
	;; [unrolled: 3-line block ×4, first 2 shown]
	ds_load_b128 v[41:44], v24 offset:48
	ds_load_b128 v[45:48], v25 offset:48
	ds_load_b128 v[49:52], v25 offset:432
	v_add_co_u32 v38, vcc_lo, s34, v38
	s_wait_dscnt 0x1
	;;#ASMSTART
	v_dot2_f32_f16 v37, v41, v45, v37
	;;#ASMEND
	;;#ASMSTART
	v_dot2_f32_f16 v37, v42, v46, v37
	;;#ASMEND
	;;#ASMSTART
	v_dot2_f32_f16 v37, v43, v47, v37
	;;#ASMEND
	;;#ASMSTART
	v_dot2_f32_f16 v37, v44, v48, v37
	;;#ASMEND
	s_wait_dscnt 0x0
	;;#ASMSTART
	v_dot2_f32_f16 v40, v41, v49, v40
	;;#ASMEND
	;;#ASMSTART
	v_dot2_f32_f16 v40, v42, v50, v40
	;;#ASMEND
	;;#ASMSTART
	v_dot2_f32_f16 v40, v43, v51, v40
	;;#ASMEND
	;;#ASMSTART
	v_dot2_f32_f16 v40, v44, v52, v40
	;;#ASMEND
	ds_load_b128 v[41:44], v24 offset:64
	ds_load_b128 v[45:48], v25 offset:64
	ds_load_b128 v[49:52], v25 offset:448
	s_wait_dscnt 0x1
	;;#ASMSTART
	v_dot2_f32_f16 v37, v41, v45, v37
	;;#ASMEND
	;;#ASMSTART
	v_dot2_f32_f16 v37, v42, v46, v37
	;;#ASMEND
	;;#ASMSTART
	v_dot2_f32_f16 v37, v43, v47, v37
	;;#ASMEND
	;;#ASMSTART
	v_dot2_f32_f16 v37, v44, v48, v37
	;;#ASMEND
	s_wait_dscnt 0x0
	;;#ASMSTART
	v_dot2_f32_f16 v40, v41, v49, v40
	;;#ASMEND
	;;#ASMSTART
	v_dot2_f32_f16 v40, v42, v50, v40
	;;#ASMEND
	;;#ASMSTART
	v_dot2_f32_f16 v40, v43, v51, v40
	;;#ASMEND
	;;#ASMSTART
	v_dot2_f32_f16 v40, v44, v52, v40
	;;#ASMEND
	ds_load_b128 v[41:44], v24 offset:80
	ds_load_b128 v[45:48], v25 offset:80
	ds_load_b128 v[49:52], v25 offset:464
	;; [unrolled: 29-line block ×4, first 2 shown]
	s_wait_dscnt 0x1
	;;#ASMSTART
	v_dot2_f32_f16 v37, v41, v45, v37
	;;#ASMEND
	;;#ASMSTART
	v_dot2_f32_f16 v37, v42, v46, v37
	;;#ASMEND
	;; [unrolled: 3-line block ×4, first 2 shown]
	s_wait_dscnt 0x0
	;;#ASMSTART
	v_dot2_f32_f16 v40, v41, v49, v40
	;;#ASMEND
	;;#ASMSTART
	v_dot2_f32_f16 v40, v42, v50, v40
	;;#ASMEND
	;; [unrolled: 3-line block ×4, first 2 shown]
	s_wait_loadcnt 0x0
	s_barrier_signal -1
	s_barrier_wait -1
	global_inv scope:SCOPE_SE
	s_clause 0x1
	global_load_b128 v[41:44], v[11:12], off offset:128
	global_load_b128 v[45:48], v[13:14], off offset:128
	s_wait_alu 0xfffd
	v_add_co_ci_u32_e64 v39, null, s35, v39, vcc_lo
	s_wait_loadcnt 0x1
	ds_store_b128 v22, v[41:44]
	s_wait_loadcnt 0x0
	ds_store_b128 v23, v[45:48]
	s_wait_dscnt 0x0
	s_barrier_signal -1
	s_barrier_wait -1
	global_inv scope:SCOPE_SE
	ds_load_b128 v[41:44], v24
	ds_load_b128 v[45:48], v25 offset:128
	ds_load_b128 v[49:52], v25 offset:512
	s_wait_dscnt 0x1
	;;#ASMSTART
	v_dot2_f32_f16 v37, v41, v45, v37
	;;#ASMEND
	;;#ASMSTART
	v_dot2_f32_f16 v37, v42, v46, v37
	;;#ASMEND
	;;#ASMSTART
	v_dot2_f32_f16 v37, v43, v47, v37
	;;#ASMEND
	;;#ASMSTART
	v_dot2_f32_f16 v37, v44, v48, v37
	;;#ASMEND
	s_wait_dscnt 0x0
	;;#ASMSTART
	v_dot2_f32_f16 v40, v41, v49, v40
	;;#ASMEND
	;;#ASMSTART
	v_dot2_f32_f16 v40, v42, v50, v40
	;;#ASMEND
	;;#ASMSTART
	v_dot2_f32_f16 v40, v43, v51, v40
	;;#ASMEND
	;;#ASMSTART
	v_dot2_f32_f16 v40, v44, v52, v40
	;;#ASMEND
	ds_load_b128 v[41:44], v24 offset:16
	ds_load_b128 v[45:48], v25 offset:144
	ds_load_b128 v[49:52], v25 offset:528
	s_wait_dscnt 0x1
	;;#ASMSTART
	v_dot2_f32_f16 v37, v41, v45, v37
	;;#ASMEND
	;;#ASMSTART
	v_dot2_f32_f16 v37, v42, v46, v37
	;;#ASMEND
	;;#ASMSTART
	v_dot2_f32_f16 v37, v43, v47, v37
	;;#ASMEND
	;;#ASMSTART
	v_dot2_f32_f16 v37, v44, v48, v37
	;;#ASMEND
	s_wait_dscnt 0x0
	;;#ASMSTART
	v_dot2_f32_f16 v40, v41, v49, v40
	;;#ASMEND
	;;#ASMSTART
	v_dot2_f32_f16 v40, v42, v50, v40
	;;#ASMEND
	;;#ASMSTART
	v_dot2_f32_f16 v40, v43, v51, v40
	;;#ASMEND
	;;#ASMSTART
	v_dot2_f32_f16 v40, v44, v52, v40
	;;#ASMEND
	ds_load_b128 v[41:44], v24 offset:32
	;; [unrolled: 29-line block ×7, first 2 shown]
	ds_load_b128 v[45:48], v25 offset:240
	ds_load_b128 v[49:52], v25 offset:624
	s_wait_dscnt 0x1
	;;#ASMSTART
	v_dot2_f32_f16 v37, v41, v45, v37
	;;#ASMEND
	;;#ASMSTART
	v_dot2_f32_f16 v37, v42, v46, v37
	;;#ASMEND
	;; [unrolled: 3-line block ×4, first 2 shown]
	s_wait_dscnt 0x0
	;;#ASMSTART
	v_dot2_f32_f16 v40, v41, v49, v40
	;;#ASMEND
	;;#ASMSTART
	v_dot2_f32_f16 v40, v42, v50, v40
	;;#ASMEND
	;; [unrolled: 3-line block ×4, first 2 shown]
	s_wait_loadcnt 0x0
	s_barrier_signal -1
	s_barrier_wait -1
	global_inv scope:SCOPE_SE
	s_clause 0x1
	global_load_b128 v[41:44], v[11:12], off offset:256
	global_load_b128 v[11:14], v[13:14], off offset:256
	s_wait_loadcnt 0x1
	ds_store_b128 v22, v[41:44]
	s_wait_loadcnt 0x0
	ds_store_b128 v23, v[11:14]
	s_wait_dscnt 0x0
	s_barrier_signal -1
	s_barrier_wait -1
	global_inv scope:SCOPE_SE
	ds_load_b128 v[11:14], v24
	ds_load_b128 v[41:44], v25 offset:256
	ds_load_b128 v[45:48], v25 offset:640
	s_wait_dscnt 0x1
	;;#ASMSTART
	v_dot2_f32_f16 v37, v11, v41, v37
	;;#ASMEND
	;;#ASMSTART
	v_dot2_f32_f16 v37, v12, v42, v37
	;;#ASMEND
	;;#ASMSTART
	v_dot2_f32_f16 v37, v13, v43, v37
	;;#ASMEND
	;;#ASMSTART
	v_dot2_f32_f16 v37, v14, v44, v37
	;;#ASMEND
	s_wait_dscnt 0x0
	;;#ASMSTART
	v_dot2_f32_f16 v40, v11, v45, v40
	;;#ASMEND
	;;#ASMSTART
	v_dot2_f32_f16 v40, v12, v46, v40
	;;#ASMEND
	;;#ASMSTART
	v_dot2_f32_f16 v40, v13, v47, v40
	;;#ASMEND
	;;#ASMSTART
	v_dot2_f32_f16 v40, v14, v48, v40
	;;#ASMEND
	ds_load_b128 v[11:14], v24 offset:16
	ds_load_b128 v[41:44], v25 offset:272
	ds_load_b128 v[45:48], v25 offset:656
	s_wait_dscnt 0x1
	;;#ASMSTART
	v_dot2_f32_f16 v37, v11, v41, v37
	;;#ASMEND
	;;#ASMSTART
	v_dot2_f32_f16 v37, v12, v42, v37
	;;#ASMEND
	;;#ASMSTART
	v_dot2_f32_f16 v37, v13, v43, v37
	;;#ASMEND
	;;#ASMSTART
	v_dot2_f32_f16 v37, v14, v44, v37
	;;#ASMEND
	s_wait_dscnt 0x0
	;;#ASMSTART
	v_dot2_f32_f16 v40, v11, v45, v40
	;;#ASMEND
	;;#ASMSTART
	v_dot2_f32_f16 v40, v12, v46, v40
	;;#ASMEND
	;;#ASMSTART
	v_dot2_f32_f16 v40, v13, v47, v40
	;;#ASMEND
	;;#ASMSTART
	v_dot2_f32_f16 v40, v14, v48, v40
	;;#ASMEND
	ds_load_b128 v[11:14], v24 offset:32
	;; [unrolled: 29-line block ×7, first 2 shown]
	ds_load_b128 v[41:44], v25 offset:368
	ds_load_b128 v[45:48], v25 offset:752
	s_wait_dscnt 0x1
	;;#ASMSTART
	v_dot2_f32_f16 v37, v11, v41, v37
	;;#ASMEND
	;;#ASMSTART
	v_dot2_f32_f16 v37, v12, v42, v37
	;;#ASMEND
	;; [unrolled: 3-line block ×4, first 2 shown]
	s_wait_dscnt 0x0
	;;#ASMSTART
	v_dot2_f32_f16 v40, v11, v45, v40
	;;#ASMEND
	;;#ASMSTART
	v_dot2_f32_f16 v40, v12, v46, v40
	;;#ASMEND
	;;#ASMSTART
	v_dot2_f32_f16 v40, v13, v47, v40
	;;#ASMEND
	;;#ASMSTART
	v_dot2_f32_f16 v40, v14, v48, v40
	;;#ASMEND
	global_load_u16 v11, v[38:39], off
	v_cmp_ngt_f32_e64 s24, 0x3f200000, |v37|
                                        ; implicit-def: $vgpr12
	s_and_saveexec_b32 s25, s24
	s_wait_alu 0xfffe
	s_xor_b32 s24, exec_lo, s25
	s_cbranch_execz .LBB23_15
; %bb.14:                               ;   in Loop: Header=BB23_13 Depth=1
	v_add_f32_e64 v12, |v37|, |v37|
	s_delay_alu instid0(VALU_DEP_1) | instskip(SKIP_1) | instid1(VALU_DEP_2)
	v_mul_f32_e32 v13, 0x3fb8aa3b, v12
	v_cmp_ngt_f32_e32 vcc_lo, 0xc2ce8ed0, v12
	v_rndne_f32_e32 v14, v13
	v_fma_f32 v38, 0x3fb8aa3b, v12, -v13
	s_delay_alu instid0(VALU_DEP_1) | instskip(SKIP_1) | instid1(VALU_DEP_2)
	v_dual_sub_f32 v13, v13, v14 :: v_dual_fmac_f32 v38, 0x32a5705f, v12
	v_cvt_i32_f32_e32 v14, v14
	v_add_f32_e32 v13, v13, v38
	s_delay_alu instid0(VALU_DEP_1) | instskip(NEXT) | instid1(TRANS32_DEP_1)
	v_exp_f32_e32 v13, v13
	v_ldexp_f32 v13, v13, v14
	s_wait_alu 0xfffd
	s_delay_alu instid0(VALU_DEP_1) | instskip(SKIP_2) | instid1(VALU_DEP_2)
	v_cndmask_b32_e32 v13, 0, v13, vcc_lo
	v_cmp_nlt_f32_e32 vcc_lo, 0x42b17218, v12
	s_wait_alu 0xfffd
	v_cndmask_b32_e32 v12, 0x7f800000, v13, vcc_lo
	s_delay_alu instid0(VALU_DEP_1) | instskip(NEXT) | instid1(VALU_DEP_1)
	v_add_f32_e32 v12, 1.0, v12
	v_rcp_f32_e32 v12, v12
	s_delay_alu instid0(TRANS32_DEP_1)
	v_fma_f32 v12, v12, -2.0, 1.0
.LBB23_15:                              ;   in Loop: Header=BB23_13 Depth=1
	s_wait_alu 0xfffe
	s_and_not1_saveexec_b32 s24, s24
	s_cbranch_execz .LBB23_17
; %bb.16:                               ;   in Loop: Header=BB23_13 Depth=1
	v_mul_f32_e32 v12, v37, v37
	s_delay_alu instid0(VALU_DEP_1) | instskip(NEXT) | instid1(VALU_DEP_1)
	v_fmaak_f32 v13, s3, v12, 0x3ca908c9
	v_fmaak_f32 v13, v12, v13, 0xbd5c1c4e
	s_delay_alu instid0(VALU_DEP_1) | instskip(NEXT) | instid1(VALU_DEP_1)
	v_fmaak_f32 v13, v12, v13, 0x3e088382
	v_fmaak_f32 v13, v12, v13, 0xbeaaaa99
	s_delay_alu instid0(VALU_DEP_1) | instskip(NEXT) | instid1(VALU_DEP_1)
	v_mul_f32_e64 v13, |v37|, v13
	v_fma_f32 v12, v12, v13, |v37|
.LBB23_17:                              ;   in Loop: Header=BB23_13 Depth=1
	s_wait_alu 0xfffe
	s_or_b32 exec_lo, exec_lo, s24
	s_delay_alu instid0(VALU_DEP_1)
	v_bfi_b32 v12, 0x7fffffff, v12, v37
	v_xor_b32_e32 v39, 16, v18
	v_max_num_f32_e32 v14, v35, v35
	v_cmp_ngt_f32_e64 s24, 0x3f200000, |v40|
	s_wait_loadcnt 0x0
	v_fma_mix_f32 v41, s31, v12, v11 op_sel_hi:[0,0,1]
	v_cmp_gt_i32_e32 vcc_lo, 32, v39
	s_wait_alu 0xfffd
	s_delay_alu instid0(VALU_DEP_2) | instskip(NEXT) | instid1(VALU_DEP_1)
	v_dual_add_f32 v13, 0x40051340, v41 :: v_dual_cndmask_b32 v12, v18, v39
	v_max_num_f32_e32 v14, v14, v13
	s_delay_alu instid0(VALU_DEP_2)
	v_lshlrev_b32_e32 v12, 2, v12
	v_xor_b32_e32 v13, 8, v18
	ds_bpermute_b32 v37, v12, v14
	v_cmp_gt_i32_e32 vcc_lo, 32, v13
	s_wait_alu 0xfffd
	v_cndmask_b32_e32 v38, v18, v13, vcc_lo
	s_wait_dscnt 0x0
	s_delay_alu instid0(VALU_DEP_1) | instskip(NEXT) | instid1(VALU_DEP_1)
	v_dual_max_num_f32 v37, v37, v37 :: v_dual_lshlrev_b32 v42, 2, v38
	v_max_num_f32_e32 v37, v14, v37
	v_xor_b32_e32 v14, 4, v18
	ds_bpermute_b32 v38, v42, v37
	v_cmp_gt_i32_e32 vcc_lo, 32, v14
	s_wait_alu 0xfffd
	v_cndmask_b32_e32 v43, v18, v14, vcc_lo
	s_wait_dscnt 0x0
	s_delay_alu instid0(VALU_DEP_1) | instskip(NEXT) | instid1(VALU_DEP_1)
	v_dual_max_num_f32 v38, v38, v38 :: v_dual_lshlrev_b32 v43, 2, v43
	v_max_num_f32_e32 v38, v37, v38
	v_xor_b32_e32 v37, 2, v18
	ds_bpermute_b32 v44, v43, v38
	v_cmp_gt_i32_e32 vcc_lo, 32, v37
	s_wait_dscnt 0x0
	s_wait_alu 0xfffd
	v_dual_cndmask_b32 v45, v18, v37 :: v_dual_max_num_f32 v46, v44, v44
	s_delay_alu instid0(VALU_DEP_1)
	v_dual_max_num_f32 v45, v38, v46 :: v_dual_lshlrev_b32 v44, 2, v45
	v_xor_b32_e32 v38, 1, v18
	ds_bpermute_b32 v46, v44, v45
	v_cmp_gt_i32_e32 vcc_lo, 32, v38
	s_wait_alu 0xfffd
	v_cndmask_b32_e32 v47, v18, v38, vcc_lo
	s_wait_dscnt 0x0
	v_max_num_f32_e32 v48, v46, v46
	s_delay_alu instid0(VALU_DEP_1)
	v_dual_max_num_f32 v45, v45, v48 :: v_dual_lshlrev_b32 v46, 2, v47
                                        ; implicit-def: $vgpr48
	ds_bpermute_b32 v47, v46, v45
	s_and_saveexec_b32 s25, s24
	s_wait_alu 0xfffe
	s_xor_b32 s24, exec_lo, s25
	s_cbranch_execz .LBB23_19
; %bb.18:                               ;   in Loop: Header=BB23_13 Depth=1
	v_add_f32_e64 v48, |v40|, |v40|
	s_delay_alu instid0(VALU_DEP_1) | instskip(SKIP_1) | instid1(VALU_DEP_2)
	v_mul_f32_e32 v49, 0x3fb8aa3b, v48
	v_cmp_ngt_f32_e32 vcc_lo, 0xc2ce8ed0, v48
	v_rndne_f32_e32 v50, v49
	v_fma_f32 v51, 0x3fb8aa3b, v48, -v49
	s_delay_alu instid0(VALU_DEP_2) | instskip(NEXT) | instid1(VALU_DEP_2)
	v_sub_f32_e32 v49, v49, v50
	v_fmac_f32_e32 v51, 0x32a5705f, v48
	v_cvt_i32_f32_e32 v50, v50
	s_delay_alu instid0(VALU_DEP_2) | instskip(NEXT) | instid1(VALU_DEP_1)
	v_add_f32_e32 v49, v49, v51
	v_exp_f32_e32 v49, v49
	s_delay_alu instid0(TRANS32_DEP_1) | instskip(SKIP_1) | instid1(VALU_DEP_1)
	v_ldexp_f32 v49, v49, v50
	s_wait_alu 0xfffd
	v_cndmask_b32_e32 v49, 0, v49, vcc_lo
	v_cmp_nlt_f32_e32 vcc_lo, 0x42b17218, v48
	s_wait_alu 0xfffd
	s_delay_alu instid0(VALU_DEP_2) | instskip(NEXT) | instid1(VALU_DEP_1)
	v_cndmask_b32_e32 v48, 0x7f800000, v49, vcc_lo
	v_add_f32_e32 v48, 1.0, v48
	s_delay_alu instid0(VALU_DEP_1) | instskip(NEXT) | instid1(TRANS32_DEP_1)
	v_rcp_f32_e32 v48, v48
	v_fma_f32 v48, v48, -2.0, 1.0
.LBB23_19:                              ;   in Loop: Header=BB23_13 Depth=1
	s_wait_alu 0xfffe
	s_and_not1_saveexec_b32 s24, s24
	s_cbranch_execz .LBB23_21
; %bb.20:                               ;   in Loop: Header=BB23_13 Depth=1
	v_mul_f32_e32 v48, v40, v40
	s_delay_alu instid0(VALU_DEP_1) | instskip(NEXT) | instid1(VALU_DEP_1)
	v_fmaak_f32 v49, s3, v48, 0x3ca908c9
	v_fmaak_f32 v49, v48, v49, 0xbd5c1c4e
	s_delay_alu instid0(VALU_DEP_1) | instskip(NEXT) | instid1(VALU_DEP_1)
	v_fmaak_f32 v49, v48, v49, 0x3e088382
	v_fmaak_f32 v49, v48, v49, 0xbeaaaa99
	s_delay_alu instid0(VALU_DEP_1) | instskip(NEXT) | instid1(VALU_DEP_1)
	v_mul_f32_e64 v49, |v40|, v49
	v_fma_f32 v48, v48, v49, |v40|
.LBB23_21:                              ;   in Loop: Header=BB23_13 Depth=1
	s_wait_alu 0xfffe
	s_or_b32 exec_lo, exec_lo, s24
	s_mul_u64 s[24:25], s[4:5], s[10:11]
	s_wait_dscnt 0x0
	s_wait_alu 0xfffe
	s_lshl_b64 s[24:25], s[24:25], 2
	s_barrier_signal -1
	s_wait_alu 0xfffe
	s_add_nc_u64 s[24:25], s[8:9], s[24:25]
	s_barrier_wait -1
	s_wait_alu 0xfffe
	v_add_co_u32 v49, vcc_lo, s24, v7
	s_wait_alu 0xfffd
	v_add_co_ci_u32_e64 v50, null, s25, v8, vcc_lo
	v_add_co_u32 v51, vcc_lo, s24, v9
	s_wait_alu 0xfffd
	v_add_co_ci_u32_e64 v52, null, s25, v10, vcc_lo
	;; [unrolled: 3-line block ×4, first 2 shown]
	global_inv scope:SCOPE_SE
	s_clause 0x1
	global_load_b128 v[49:52], v[49:50], off
	global_load_b128 v[53:56], v[53:54], off
	v_cvt_f32_f16_e32 v57, v11
	v_bfi_b32 v11, 0x7fffffff, v48, v40
	s_or_b32 s24, s4, 16
	s_wait_alu 0xfffe
	s_ashr_i32 s25, s24, 31
	s_delay_alu instid0(VALU_DEP_1)
	v_fmac_f32_e32 v57, s31, v11
	v_max_num_f32_e32 v11, v36, v36
	s_wait_alu 0xfffe
	s_mul_u64 s[24:25], s[24:25], s[10:11]
	s_wait_alu 0xfffe
	s_lshl_b64 s[24:25], s[24:25], 2
	v_add_f32_e32 v40, 0x40051340, v57
	s_wait_alu 0xfffe
	s_add_nc_u64 s[24:25], s[8:9], s[24:25]
	s_delay_alu instid0(VALU_DEP_1) | instskip(SKIP_3) | instid1(VALU_DEP_1)
	v_max_num_f32_e32 v11, v11, v40
	ds_bpermute_b32 v12, v12, v11
	s_wait_dscnt 0x0
	v_max_num_f32_e32 v12, v12, v12
	v_max_num_f32_e32 v11, v11, v12
	ds_bpermute_b32 v12, v42, v11
	v_max_num_f32_e32 v42, v45, v45
	s_wait_dscnt 0x0
	v_max_num_f32_e32 v12, v12, v12
	s_delay_alu instid0(VALU_DEP_1) | instskip(SKIP_3) | instid1(VALU_DEP_1)
	v_max_num_f32_e32 v11, v11, v12
	ds_bpermute_b32 v12, v43, v11
	s_wait_dscnt 0x0
	v_max_num_f32_e32 v12, v12, v12
	v_max_num_f32_e32 v11, v11, v12
	ds_bpermute_b32 v12, v44, v11
	s_wait_dscnt 0x0
	v_max_num_f32_e32 v12, v12, v12
	s_delay_alu instid0(VALU_DEP_1) | instskip(SKIP_3) | instid1(VALU_DEP_1)
	v_max_num_f32_e32 v12, v11, v12
	ds_bpermute_b32 v11, v46, v12
	s_wait_dscnt 0x0
	v_max_num_f32_e32 v43, v11, v11
	v_max_num_f32_e32 v12, v12, v43
	s_delay_alu instid0(VALU_DEP_1) | instskip(NEXT) | instid1(VALU_DEP_1)
	v_dual_max_num_f32 v40, v47, v47 :: v_dual_sub_f32 v43, v57, v12
	v_dual_max_num_f32 v11, v42, v40 :: v_dual_mul_f32 v42, 0x3fb8aa3b, v43
	s_delay_alu instid0(VALU_DEP_1) | instskip(NEXT) | instid1(VALU_DEP_2)
	v_sub_f32_e32 v40, v41, v11
	v_rndne_f32_e32 v47, v42
	s_delay_alu instid0(VALU_DEP_2) | instskip(SKIP_2) | instid1(VALU_DEP_4)
	v_mul_f32_e32 v41, 0x3fb8aa3b, v40
	v_fma_f32 v46, 0x3fb8aa3b, v43, -v42
	v_cmp_ngt_f32_e32 vcc_lo, 0xc2ce8ed0, v40
	v_sub_f32_e32 v42, v42, v47
	s_delay_alu instid0(VALU_DEP_4) | instskip(SKIP_2) | instid1(VALU_DEP_2)
	v_fma_f32 v44, 0x3fb8aa3b, v40, -v41
	v_rndne_f32_e32 v45, v41
	v_fmac_f32_e32 v46, 0x32a5705f, v43
	v_dual_fmac_f32 v44, 0x32a5705f, v40 :: v_dual_sub_f32 v41, v41, v45
	s_delay_alu instid0(VALU_DEP_2)
	v_add_f32_e32 v42, v42, v46
	v_cvt_i32_f32_e32 v45, v45
	v_cvt_i32_f32_e32 v46, v47
	v_add_nc_u32_e32 v47, v28, v15
	v_add_f32_e32 v41, v41, v44
	v_exp_f32_e32 v44, v42
	v_dual_sub_f32 v35, v35, v11 :: v_dual_add_nc_u32 v42, 0x800, v17
	s_delay_alu instid0(VALU_DEP_2) | instskip(NEXT) | instid1(VALU_DEP_1)
	v_exp_f32_e32 v41, v41
	v_mul_f32_e32 v99, 0x3fb8aa3b, v35
	s_delay_alu instid0(TRANS32_DEP_2) | instskip(NEXT) | instid1(VALU_DEP_2)
	v_ldexp_f32 v44, v44, v46
	v_rndne_f32_e32 v102, v99
	v_fma_f32 v101, 0x3fb8aa3b, v35, -v99
	s_delay_alu instid0(TRANS32_DEP_1) | instskip(NEXT) | instid1(VALU_DEP_3)
	v_ldexp_f32 v41, v41, v45
	v_dual_sub_f32 v36, v36, v12 :: v_dual_sub_f32 v99, v99, v102
	s_delay_alu instid0(VALU_DEP_3) | instskip(SKIP_1) | instid1(VALU_DEP_3)
	v_fmac_f32_e32 v101, 0x32a5705f, v35
	s_wait_alu 0xfffd
	v_cndmask_b32_e32 v41, 0, v41, vcc_lo
	v_cmp_ngt_f32_e32 vcc_lo, 0xc2ce8ed0, v43
	s_delay_alu instid0(VALU_DEP_3)
	v_dual_mul_f32 v100, 0x3fb8aa3b, v36 :: v_dual_add_f32 v99, v99, v101
	v_cvt_i32_f32_e32 v101, v102
	s_wait_alu 0xfffd
	v_cndmask_b32_e32 v44, 0, v44, vcc_lo
	s_wait_alu 0xfffe
	v_add_co_u32 v45, vcc_lo, s24, v7
	s_wait_alu 0xfffd
	v_add_co_ci_u32_e64 v46, null, s25, v8, vcc_lo
	v_cmp_nlt_f32_e32 vcc_lo, 0x42b17218, v40
	v_exp_f32_e32 v99, v99
	v_fma_f32 v103, 0x3fb8aa3b, v36, -v100
	v_rndne_f32_e32 v104, v100
	s_wait_alu 0xfffd
	v_cndmask_b32_e32 v41, 0x7f800000, v41, vcc_lo
	v_cmp_nlt_f32_e32 vcc_lo, 0x42b17218, v43
	v_fmac_f32_e32 v103, 0x32a5705f, v36
	v_cvt_i32_f32_e32 v102, v104
	s_delay_alu instid0(VALU_DEP_4)
	v_cvt_f16_f32_e32 v48, v41
	s_wait_alu 0xfffd
	v_cndmask_b32_e32 v40, 0x7f800000, v44, vcc_lo
	v_add_co_u32 v43, vcc_lo, s24, v9
	s_wait_alu 0xfffd
	v_add_co_ci_u32_e64 v44, null, s25, v10, vcc_lo
	s_delay_alu instid0(VALU_DEP_3)
	v_cvt_f16_f32_e32 v57, v40
	v_add_co_u32 v91, vcc_lo, v45, v31
	s_wait_alu 0xfffd
	v_add_co_ci_u32_e64 v92, null, 0, v46, vcc_lo
	v_add_co_u32 v95, vcc_lo, v43, v31
	v_pack_b32_f16 v45, v48, v57
	s_wait_alu 0xfffd
	v_add_co_ci_u32_e64 v96, null, 0, v44, vcc_lo
	v_ldexp_f32 v99, v99, v101
	v_cmp_ngt_f32_e32 vcc_lo, 0xc2ce8ed0, v35
	v_sub_f32_e32 v100, v100, v104
	ds_store_b32 v47, v45
	s_wait_loadcnt 0x1
	ds_store_b128 v26, v[49:52]
	s_wait_loadcnt 0x0
	ds_store_b128 v29, v[53:56]
	s_wait_dscnt 0x0
	s_barrier_signal -1
	s_barrier_wait -1
	global_inv scope:SCOPE_SE
	ds_load_b128 v[43:46], v28
	ds_load_b128 v[47:50], v28 offset:16
	ds_load_2addr_b64 v[51:54], v17 offset1:32
	ds_load_b128 v[55:58], v28 offset:32
	ds_load_b128 v[59:62], v28 offset:48
	ds_load_2addr_b64 v[63:66], v17 offset0:64 offset1:96
	ds_load_2addr_b64 v[67:70], v17 offset0:128 offset1:160
	ds_load_2addr_b64 v[71:74], v17 offset0:192 offset1:224
	ds_load_2addr_b64 v[75:78], v42 offset1:32
	ds_load_2addr_b64 v[79:82], v42 offset0:64 offset1:96
	ds_load_2addr_b64 v[83:86], v42 offset0:128 offset1:160
	;; [unrolled: 1-line block ×3, first 2 shown]
	s_wait_loadcnt_dscnt 0x0
	s_barrier_signal -1
	s_barrier_wait -1
	global_inv scope:SCOPE_SE
	s_clause 0x1
	global_load_b128 v[91:94], v[91:92], off
	global_load_b128 v[95:98], v[95:96], off
	s_wait_alu 0xfffd
	v_cndmask_b32_e32 v99, 0, v99, vcc_lo
	v_add_f32_e32 v100, v100, v103
	v_cmp_ngt_f32_e32 vcc_lo, 0xc2ce8ed0, v36
	s_wait_loadcnt 0x1
	ds_store_b128 v26, v[91:94]
	s_wait_loadcnt 0x0
	ds_store_b128 v29, v[95:98]
	v_lshrrev_b32_e32 v103, 16, v49
	v_and_b32_e32 v49, 0xffff, v49
	v_exp_f32_e32 v100, v100
	v_lshrrev_b32_e32 v101, 16, v47
	v_and_b32_e32 v47, 0xffff, v47
	v_lshrrev_b32_e32 v104, 16, v50
	v_and_b32_e32 v50, 0xffff, v50
	v_mul_u32_u24_e32 v49, 0x10001, v49
	v_mul_u32_u24_e32 v101, 0x10001, v101
	;; [unrolled: 1-line block ×3, first 2 shown]
	v_lshrrev_b32_e32 v105, 16, v55
	v_and_b32_e32 v55, 0xffff, v55
	v_ldexp_f32 v100, v100, v102
	v_lshrrev_b32_e32 v102, 16, v48
	v_and_b32_e32 v48, 0xffff, v48
	v_mul_u32_u24_e32 v103, 0x10001, v103
	v_mul_u32_u24_e32 v50, 0x10001, v50
	s_wait_alu 0xfffd
	v_cndmask_b32_e32 v100, 0, v100, vcc_lo
	v_cmp_nlt_f32_e32 vcc_lo, 0x42b17218, v35
	v_mul_u32_u24_e32 v48, 0x10001, v48
	v_mul_u32_u24_e32 v102, 0x10001, v102
	v_lshrrev_b32_e32 v106, 16, v56
	v_and_b32_e32 v56, 0xffff, v56
	s_wait_alu 0xfffd
	v_cndmask_b32_e32 v35, 0x7f800000, v99, vcc_lo
	v_cmp_nlt_f32_e32 vcc_lo, 0x42b17218, v36
	v_mul_u32_u24_e32 v104, 0x10001, v104
	v_mul_u32_u24_e32 v55, 0x10001, v55
	v_lshrrev_b32_e32 v107, 16, v57
	v_cvt_f16_f32_e32 v99, v35
	v_and_b32_e32 v57, 0xffff, v57
	v_lshrrev_b32_e32 v108, 16, v58
	v_and_b32_e32 v58, 0xffff, v58
	v_lshrrev_b32_e32 v109, 16, v59
	v_and_b32_e32 v99, 0xffff, v99
	s_wait_alu 0xfffd
	v_cndmask_b32_e32 v36, 0x7f800000, v100, vcc_lo
	v_and_b32_e32 v59, 0xffff, v59
	v_lshrrev_b32_e32 v110, 16, v60
	v_and_b32_e32 v60, 0xffff, v60
	v_mul_u32_u24_e32 v99, 0x10001, v99
	v_dual_fmac_f32 v40, v34, v36 :: v_dual_fmac_f32 v41, v33, v35
	v_cvt_f16_f32_e32 v100, v36
	v_lshrrev_b32_e32 v33, 16, v43
	v_and_b32_e32 v34, 0xffff, v43
	v_pk_mul_f16 v32, v32, v99
	v_and_b32_e32 v36, 0xffff, v44
	v_and_b32_e32 v100, 0xffff, v100
	v_mul_u32_u24_e32 v33, 0x10001, v33
	v_mul_u32_u24_e32 v34, 0x10001, v34
	v_lshrrev_b32_e32 v35, 16, v44
	v_and_b32_e32 v44, 0xffff, v45
	v_mul_u32_u24_e32 v100, 0x10001, v100
	v_mul_u32_u24_e32 v36, 0x10001, v36
	v_pk_mul_f16 v113, v51, v34
	v_pk_mul_f16 v51, v51, v33
	v_pk_fma_f16 v32, v52, v34, v32
	v_pk_mul_f16 v21, v21, v100
	v_lshrrev_b32_e32 v43, 16, v45
	v_lshrrev_b32_e32 v45, 16, v46
	v_and_b32_e32 v46, 0xffff, v46
	v_mul_u32_u24_e32 v35, 0x10001, v35
	v_mul_u32_u24_e32 v44, 0x10001, v44
	v_pk_fma_f16 v21, v52, v33, v21
	v_pk_fma_f16 v27, v27, v99, v113
	;; [unrolled: 1-line block ×4, first 2 shown]
	v_mul_u32_u24_e32 v43, 0x10001, v43
	v_mul_u32_u24_e32 v46, 0x10001, v46
	v_pk_fma_f16 v21, v54, v35, v21
	v_pk_fma_f16 v27, v53, v36, v27
	v_pk_fma_f16 v20, v53, v35, v20
	v_pk_fma_f16 v32, v64, v44, v32
	v_mul_u32_u24_e32 v45, 0x10001, v45
	v_pk_fma_f16 v21, v64, v43, v21
	v_pk_fma_f16 v27, v63, v44, v27
	v_pk_fma_f16 v20, v63, v43, v20
	v_pk_fma_f16 v32, v66, v46, v32
	;; [unrolled: 5-line block ×10, first 2 shown]
	v_lshrrev_b32_e32 v111, 16, v61
	v_and_b32_e32 v61, 0xffff, v61
	v_mul_u32_u24_e32 v47, 0x10001, v109
	v_mul_u32_u24_e32 v34, 0x10001, v60
	v_pk_fma_f16 v21, v82, v45, v21
	v_pk_fma_f16 v27, v81, v44, v27
	;; [unrolled: 1-line block ×4, first 2 shown]
	v_lshrrev_b32_e32 v112, 16, v62
	v_and_b32_e32 v62, 0xffff, v62
	v_mul_u32_u24_e32 v33, 0x10001, v110
	v_mul_u32_u24_e32 v35, 0x10001, v61
	v_pk_fma_f16 v21, v84, v47, v21
	v_pk_fma_f16 v27, v83, v46, v27
	;; [unrolled: 1-line block ×4, first 2 shown]
	v_mul_u32_u24_e32 v36, 0x10001, v111
	v_mul_u32_u24_e32 v43, 0x10001, v62
	v_pk_fma_f16 v21, v86, v33, v21
	v_pk_fma_f16 v27, v85, v34, v27
	;; [unrolled: 1-line block ×4, first 2 shown]
	s_wait_dscnt 0x0
	v_pk_fma_f16 v21, v88, v36, v21
	v_pk_fma_f16 v27, v87, v35, v27
	;; [unrolled: 1-line block ×4, first 2 shown]
	s_barrier_signal -1
	s_barrier_wait -1
	global_inv scope:SCOPE_SE
	ds_load_b128 v[32:35], v28 offset:64
	v_mul_u32_u24_e32 v44, 0x10001, v112
	v_pk_fma_f16 v27, v89, v43, v27
	s_delay_alu instid0(VALU_DEP_2)
	v_pk_fma_f16 v21, v90, v44, v21
	v_pk_fma_f16 v20, v89, v44, v20
	ds_load_2addr_b64 v[43:46], v17 offset1:32
	ds_load_b128 v[47:50], v28 offset:80
	ds_load_b128 v[51:54], v28 offset:96
	;; [unrolled: 1-line block ×3, first 2 shown]
	ds_load_2addr_b64 v[59:62], v17 offset0:64 offset1:96
	ds_load_2addr_b64 v[63:66], v17 offset0:128 offset1:160
	;; [unrolled: 1-line block ×3, first 2 shown]
	ds_load_2addr_b64 v[71:74], v42 offset1:32
	ds_load_2addr_b64 v[75:78], v42 offset0:64 offset1:96
	ds_load_2addr_b64 v[79:82], v42 offset0:128 offset1:160
	;; [unrolled: 1-line block ×3, first 2 shown]
	s_wait_loadcnt_dscnt 0x0
	s_barrier_signal -1
	s_barrier_wait -1
	global_inv scope:SCOPE_SE
	s_load_b32 s5, s[20:21], 0x4
	v_lshrrev_b32_e32 v90, 16, v47
	v_lshrrev_b32_e32 v42, 16, v32
	v_and_b32_e32 v32, 0xffff, v32
	v_lshrrev_b32_e32 v87, 16, v33
	v_and_b32_e32 v33, 0xffff, v33
	v_lshrrev_b32_e32 v88, 16, v34
	v_mul_u32_u24_e32 v42, 0x10001, v42
	v_mul_u32_u24_e32 v32, 0x10001, v32
	v_and_b32_e32 v34, 0xffff, v34
	v_mul_u32_u24_e32 v33, 0x10001, v33
	v_mul_u32_u24_e32 v87, 0x10001, v87
	v_pk_fma_f16 v20, v43, v42, v20
	v_pk_fma_f16 v27, v43, v32, v27
	;; [unrolled: 1-line block ×4, first 2 shown]
	v_lshrrev_b32_e32 v89, 16, v35
	v_and_b32_e32 v35, 0xffff, v35
	v_mul_u32_u24_e32 v34, 0x10001, v34
	v_mul_u32_u24_e32 v88, 0x10001, v88
	v_pk_fma_f16 v27, v45, v33, v27
	v_pk_fma_f16 v20, v45, v87, v20
	v_pk_fma_f16 v32, v46, v33, v32
	v_pk_fma_f16 v21, v46, v87, v21
	v_and_b32_e32 v47, 0xffff, v47
	v_mul_u32_u24_e32 v35, 0x10001, v35
	v_mul_u32_u24_e32 v89, 0x10001, v89
	v_pk_fma_f16 v27, v59, v34, v27
	v_pk_fma_f16 v20, v59, v88, v20
	v_pk_fma_f16 v32, v60, v34, v32
	v_pk_fma_f16 v21, v60, v88, v21
	v_lshrrev_b32_e32 v91, 16, v48
	v_and_b32_e32 v48, 0xffff, v48
	v_mul_u32_u24_e32 v47, 0x10001, v47
	v_mul_u32_u24_e32 v90, 0x10001, v90
	v_pk_fma_f16 v27, v61, v35, v27
	v_pk_fma_f16 v20, v61, v89, v20
	v_pk_fma_f16 v32, v62, v35, v32
	v_pk_fma_f16 v21, v62, v89, v21
	v_lshrrev_b32_e32 v92, 16, v49
	;; [unrolled: 8-line block ×11, first 2 shown]
	v_and_b32_e32 v58, 0xffff, v58
	v_mul_u32_u24_e32 v34, 0x10001, v57
	v_mul_u32_u24_e32 v35, 0x10001, v100
	v_pk_fma_f16 v27, v81, v46, v27
	v_pk_fma_f16 v20, v81, v33, v20
	;; [unrolled: 1-line block ×4, first 2 shown]
	v_mul_u32_u24_e32 v36, 0x10001, v58
	v_mul_u32_u24_e32 v33, 0x10001, v101
	v_pk_fma_f16 v27, v83, v34, v27
	v_pk_fma_f16 v20, v83, v35, v20
	v_pk_fma_f16 v32, v84, v34, v32
	v_pk_fma_f16 v21, v84, v35, v21
	s_wait_kmcnt 0x0
	s_lshl_b32 s5, s5, 5
	v_pk_fma_f16 v27, v85, v36, v27
	v_pk_fma_f16 v20, v85, v33, v20
	;; [unrolled: 1-line block ×4, first 2 shown]
	s_wait_alu 0xfffe
	s_add_co_i32 s4, s5, s4
	s_wait_alu 0xfffe
	s_cmp_ge_i32 s4, s30
	s_cbranch_scc1 .LBB23_23
; %bb.22:                               ;   in Loop: Header=BB23_13 Depth=1
	v_dual_mov_b32 v35, v11 :: v_dual_mov_b32 v36, v12
	v_dual_mov_b32 v33, v41 :: v_dual_mov_b32 v34, v40
	s_branch .LBB23_13
.LBB23_23:
	v_mov_b32_e32 v2, v18
.LBB23_24:
	v_cmp_lt_i32_e32 vcc_lo, v39, v19
	s_cmp_lg_u64 s[12:13], 0
	s_cselect_b32 s3, -1, 0
	s_cmp_eq_u32 s2, 0
	s_wait_alu 0xfffd
	v_cndmask_b32_e32 v3, v2, v39, vcc_lo
	v_cmp_lt_i32_e32 vcc_lo, v13, v19
	s_cselect_b32 s4, -1, 0
	s_wait_alu 0xfffe
	s_and_b32 s3, s4, s3
	v_lshlrev_b32_e32 v3, 2, v3
	s_wait_alu 0xfffd
	v_cndmask_b32_e32 v5, v2, v13, vcc_lo
	v_cmp_lt_i32_e32 vcc_lo, v14, v19
	ds_bpermute_b32 v4, v3, v41
	s_wait_dscnt 0x0
	v_dual_add_f32 v4, v41, v4 :: v_dual_lshlrev_b32 v5, 2, v5
	ds_bpermute_b32 v6, v5, v4
	s_wait_dscnt 0x0
	v_add_f32_e32 v4, v4, v6
	ds_bpermute_b32 v3, v3, v40
	s_wait_alu 0xfffd
	v_cndmask_b32_e32 v7, v2, v14, vcc_lo
	v_cmp_lt_i32_e32 vcc_lo, v37, v19
	s_delay_alu instid0(VALU_DEP_2)
	v_lshlrev_b32_e32 v7, 2, v7
	s_wait_dscnt 0x0
	v_add_f32_e32 v3, v40, v3
	ds_bpermute_b32 v5, v5, v3
	s_wait_dscnt 0x0
	v_add_f32_e32 v3, v3, v5
	ds_bpermute_b32 v5, v7, v4
	ds_bpermute_b32 v6, v7, v3
	s_wait_alu 0xfffd
	v_cndmask_b32_e32 v7, v2, v37, vcc_lo
	v_cmp_lt_i32_e32 vcc_lo, v38, v19
	s_wait_alu 0xfffd
	s_delay_alu instid0(VALU_DEP_2) | instskip(SKIP_3) | instid1(VALU_DEP_1)
	v_dual_cndmask_b32 v2, v2, v38 :: v_dual_lshlrev_b32 v7, 2, v7
	s_wait_alu 0xfffe
	s_and_b32 vcc_lo, exec_lo, s3
	s_mov_b32 s3, 0
	v_lshlrev_b32_e32 v2, 2, v2
	s_wait_dscnt 0x0
	v_dual_add_f32 v4, v4, v5 :: v_dual_add_f32 v3, v3, v6
	ds_bpermute_b32 v5, v7, v4
	ds_bpermute_b32 v6, v7, v3
	s_wait_dscnt 0x0
	v_dual_add_f32 v4, v4, v5 :: v_dual_add_f32 v3, v3, v6
	ds_bpermute_b32 v5, v2, v4
	ds_bpermute_b32 v6, v2, v3
	s_wait_dscnt 0x1
	v_add_f32_e32 v2, v4, v5
	s_wait_dscnt 0x0
	v_dual_add_f32 v3, v3, v6 :: v_dual_add_nc_u32 v4, s33, v16
	s_wait_alu 0xfffe
	s_cbranch_vccnz .LBB23_27
; %bb.25:
	s_delay_alu instid0(VALU_DEP_1)
	v_dual_mov_b32 v6, v3 :: v_dual_add_nc_u32 v7, s33, v16
	v_mov_b32_e32 v5, v2
	s_and_not1_b32 vcc_lo, exec_lo, s3
	s_wait_alu 0xfffe
	s_cbranch_vccz .LBB23_28
; %bb.26:
	v_mov_b32_e32 v4, v7
	s_branch .LBB23_29
.LBB23_27:
                                        ; implicit-def: $vgpr7
                                        ; implicit-def: $vgpr5_vgpr6
.LBB23_28:
	s_delay_alu instid0(VALU_DEP_1) | instskip(NEXT) | instid1(VALU_DEP_1)
	v_ashrrev_i32_e32 v5, 31, v4
	v_lshlrev_b64_e32 v[5:6], 2, v[4:5]
	s_delay_alu instid0(VALU_DEP_1) | instskip(SKIP_1) | instid1(VALU_DEP_2)
	v_add_co_u32 v5, vcc_lo, s12, v5
	s_wait_alu 0xfffd
	v_add_co_ci_u32_e64 v6, null, s13, v6, vcc_lo
	global_load_b64 v[5:6], v[5:6], off
	v_max_num_f32_e32 v7, v11, v11
	s_wait_loadcnt 0x0
	v_dual_max_num_f32 v9, v12, v12 :: v_dual_max_num_f32 v10, v6, v6
	v_max_num_f32_e32 v8, v5, v5
	s_delay_alu instid0(VALU_DEP_1) | instskip(NEXT) | instid1(VALU_DEP_1)
	v_dual_max_num_f32 v7, v7, v8 :: v_dual_max_num_f32 v8, v9, v10
	v_dual_sub_f32 v9, v11, v7 :: v_dual_sub_f32 v10, v12, v8
	v_dual_sub_f32 v5, v5, v7 :: v_dual_sub_f32 v6, v6, v8
	s_delay_alu instid0(VALU_DEP_2) | instskip(NEXT) | instid1(VALU_DEP_2)
	v_mul_f32_e32 v11, 0x3fb8aa3b, v9
	v_dual_mul_f32 v13, 0x3fb8aa3b, v10 :: v_dual_mul_f32 v12, 0x3fb8aa3b, v5
	s_delay_alu instid0(VALU_DEP_3) | instskip(SKIP_1) | instid1(VALU_DEP_4)
	v_mul_f32_e32 v14, 0x3fb8aa3b, v6
	v_cmp_ngt_f32_e32 vcc_lo, 0xc2ce8ed0, v9
	v_fma_f32 v16, 0x3fb8aa3b, v9, -v11
	v_rndne_f32_e32 v17, v11
	v_fma_f32 v19, 0x3fb8aa3b, v10, -v13
	v_rndne_f32_e32 v22, v13
	v_rndne_f32_e32 v23, v12
	v_fmac_f32_e32 v16, 0x32a5705f, v9
	v_sub_f32_e32 v11, v11, v17
	v_fma_f32 v18, 0x3fb8aa3b, v5, -v12
	v_fmac_f32_e32 v19, 0x32a5705f, v10
	v_sub_f32_e32 v13, v13, v22
	v_fma_f32 v24, 0x3fb8aa3b, v6, -v14
	v_dual_sub_f32 v12, v12, v23 :: v_dual_add_f32 v11, v11, v16
	v_rndne_f32_e32 v25, v14
	s_delay_alu instid0(VALU_DEP_4) | instskip(NEXT) | instid1(VALU_DEP_4)
	v_dual_fmac_f32 v18, 0x32a5705f, v5 :: v_dual_add_f32 v13, v13, v19
	v_fmac_f32_e32 v24, 0x32a5705f, v6
	s_delay_alu instid0(VALU_DEP_4) | instskip(NEXT) | instid1(VALU_DEP_3)
	v_exp_f32_e32 v11, v11
	v_sub_f32_e32 v14, v14, v25
	v_cvt_i32_f32_e32 v16, v17
	v_exp_f32_e32 v13, v13
	v_cvt_i32_f32_e32 v17, v22
	s_delay_alu instid0(TRANS32_DEP_2) | instid1(VALU_DEP_2)
	v_ldexp_f32 v11, v11, v16
	v_add_f32_e32 v12, v12, v18
	v_cvt_i32_f32_e32 v18, v23
	s_delay_alu instid0(TRANS32_DEP_1) | instid1(VALU_DEP_4)
	v_ldexp_f32 v13, v13, v17
	v_cvt_i32_f32_e32 v16, v25
	s_wait_alu 0xfffd
	v_cndmask_b32_e32 v11, 0, v11, vcc_lo
	v_cmp_ngt_f32_e32 vcc_lo, 0xc2ce8ed0, v10
	v_add_f32_e32 v14, v14, v24
	v_exp_f32_e32 v12, v12
	s_wait_alu 0xfffd
	v_cndmask_b32_e32 v13, 0, v13, vcc_lo
	v_cmp_nlt_f32_e32 vcc_lo, 0x42b17218, v9
	v_exp_f32_e32 v14, v14
	s_wait_alu 0xfffd
	v_cndmask_b32_e32 v9, 0x7f800000, v11, vcc_lo
	v_cmp_nlt_f32_e32 vcc_lo, 0x42b17218, v10
	s_delay_alu instid0(TRANS32_DEP_2) | instskip(SKIP_3) | instid1(TRANS32_DEP_1)
	v_ldexp_f32 v12, v12, v18
	s_wait_alu 0xfffd
	v_cndmask_b32_e32 v10, 0x7f800000, v13, vcc_lo
	v_cmp_ngt_f32_e32 vcc_lo, 0xc2ce8ed0, v5
	v_ldexp_f32 v11, v14, v16
	v_cvt_f16_f32_e32 v13, v9
	s_wait_alu 0xfffd
	v_cndmask_b32_e32 v12, 0, v12, vcc_lo
	v_cmp_ngt_f32_e32 vcc_lo, 0xc2ce8ed0, v6
	s_wait_alu 0xfffd
	v_cndmask_b32_e32 v11, 0, v11, vcc_lo
	v_cmp_nlt_f32_e32 vcc_lo, 0x42b17218, v5
	s_wait_alu 0xfffd
	v_cndmask_b32_e32 v5, 0x7f800000, v12, vcc_lo
	v_and_b32_e32 v12, 0xffff, v13
	v_cmp_nlt_f32_e32 vcc_lo, 0x42b17218, v6
	s_delay_alu instid0(VALU_DEP_3) | instskip(NEXT) | instid1(VALU_DEP_3)
	v_fmac_f32_e32 v5, v2, v9
	v_mul_u32_u24_e32 v9, 0x10001, v12
	s_wait_alu 0xfffd
	v_cndmask_b32_e32 v6, 0x7f800000, v11, vcc_lo
	v_dual_mov_b32 v12, v8 :: v_dual_mov_b32 v11, v7
	v_cvt_f16_f32_e32 v14, v10
	v_mov_b32_e32 v2, v5
	s_delay_alu instid0(VALU_DEP_4) | instskip(SKIP_3) | instid1(VALU_DEP_4)
	v_fmac_f32_e32 v6, v3, v10
	v_pk_mul_f16 v27, v27, v9
	v_pk_mul_f16 v32, v32, v9
	v_and_b32_e32 v13, 0xffff, v14
	v_mov_b32_e32 v3, v6
	s_delay_alu instid0(VALU_DEP_2) | instskip(NEXT) | instid1(VALU_DEP_1)
	v_mul_u32_u24_e32 v7, 0x10001, v13
	v_pk_mul_f16 v20, v20, v7
	v_pk_mul_f16 v21, v21, v7
.LBB23_29:
	s_load_b32 s1, s[0:1], 0xd4
	v_mov_b32_e32 v7, 1.0
	s_wait_kmcnt 0x0
	s_cmp_lg_u32 s1, 1
	s_cselect_b32 s4, -1, 0
	s_cmp_eq_u32 s1, 1
	s_cselect_b32 s3, -1, 0
	s_wait_alu 0xfffe
	s_and_b32 vcc_lo, exec_lo, s4
	s_wait_alu 0xfffe
	s_cbranch_vccnz .LBB23_31
; %bb.30:
	v_div_scale_f32 v7, null, v2, v2, 1.0
	s_delay_alu instid0(VALU_DEP_1) | instskip(NEXT) | instid1(TRANS32_DEP_1)
	v_rcp_f32_e32 v8, v7
	v_fma_f32 v9, -v7, v8, 1.0
	s_delay_alu instid0(VALU_DEP_1) | instskip(SKIP_1) | instid1(VALU_DEP_1)
	v_fmac_f32_e32 v8, v9, v8
	v_div_scale_f32 v9, vcc_lo, 1.0, v2, 1.0
	v_mul_f32_e32 v10, v9, v8
	s_delay_alu instid0(VALU_DEP_1) | instskip(NEXT) | instid1(VALU_DEP_1)
	v_fma_f32 v13, -v7, v10, v9
	v_fmac_f32_e32 v10, v13, v8
	s_delay_alu instid0(VALU_DEP_1) | instskip(SKIP_1) | instid1(VALU_DEP_1)
	v_fma_f32 v7, -v7, v10, v9
	s_wait_alu 0xfffd
	v_div_fmas_f32 v7, v7, v8, v10
	s_delay_alu instid0(VALU_DEP_1)
	v_div_fixup_f32 v7, v7, v2, 1.0
.LBB23_31:
	v_mad_co_u64_u32 v[1:2], null, s28, s22, v[1:2]
	v_cmp_eq_u32_e32 vcc_lo, 0, v0
	v_lshrrev_b32_e32 v0, 16, v27
	v_cvt_f32_f16_e32 v10, v32
	s_delay_alu instid0(VALU_DEP_2) | instskip(SKIP_2) | instid1(VALU_DEP_4)
	v_cvt_f32_f16_e32 v0, v0
	v_mad_co_u64_u32 v[1:2], null, v1, s23, v[4:5]
	v_cvt_f32_f16_e32 v4, v27
	v_dual_mov_b32 v9, 0 :: v_dual_mul_f32 v18, v7, v10
	s_delay_alu instid0(VALU_DEP_4) | instskip(NEXT) | instid1(VALU_DEP_3)
	v_mul_f32_e32 v17, v7, v0
	v_mul_f32_e32 v16, v7, v4
	v_mad_co_u64_u32 v[1:2], null, s1, v1, s[2:3]
	v_lshrrev_b32_e32 v2, 16, v32
	s_delay_alu instid0(VALU_DEP_1) | instskip(NEXT) | instid1(VALU_DEP_3)
	v_cvt_f32_f16_e32 v2, v2
	v_lshl_add_u32 v8, v1, 7, v15
	s_delay_alu instid0(VALU_DEP_2) | instskip(NEXT) | instid1(VALU_DEP_2)
	v_mul_f32_e32 v19, v7, v2
	v_lshlrev_b64_e32 v[8:9], 2, v[8:9]
	s_delay_alu instid0(VALU_DEP_1) | instskip(SKIP_1) | instid1(VALU_DEP_2)
	v_add_co_u32 v7, s0, s16, v8
	s_wait_alu 0xf1ff
	v_add_co_ci_u32_e64 v8, null, s17, v9, s0
	s_and_b32 s0, vcc_lo, s4
	global_store_b128 v[7:8], v[16:19], off
	s_wait_alu 0xfffe
	s_and_saveexec_b32 s2, s0
	s_cbranch_execz .LBB23_33
; %bb.32:
	v_ashrrev_i32_e32 v2, 31, v1
	v_mov_b32_e32 v4, v11
	s_delay_alu instid0(VALU_DEP_2) | instskip(NEXT) | instid1(VALU_DEP_1)
	v_lshlrev_b64_e32 v[7:8], 3, v[1:2]
	v_add_co_u32 v7, vcc_lo, s18, v7
	s_wait_alu 0xfffd
	s_delay_alu instid0(VALU_DEP_2)
	v_add_co_ci_u32_e64 v8, null, s19, v8, vcc_lo
	global_store_b64 v[7:8], v[4:5], off
.LBB23_33:
	s_wait_alu 0xfffe
	s_or_b32 exec_lo, exec_lo, s2
	v_mov_b32_e32 v2, 1.0
	s_and_not1_b32 vcc_lo, exec_lo, s3
	s_wait_alu 0xfffe
	s_cbranch_vccnz .LBB23_35
; %bb.34:
	v_div_scale_f32 v0, null, v3, v3, 1.0
	s_delay_alu instid0(VALU_DEP_1) | instskip(NEXT) | instid1(TRANS32_DEP_1)
	v_rcp_f32_e32 v2, v0
	v_fma_f32 v4, -v0, v2, 1.0
	s_delay_alu instid0(VALU_DEP_1) | instskip(SKIP_1) | instid1(VALU_DEP_1)
	v_fmac_f32_e32 v2, v4, v2
	v_div_scale_f32 v4, vcc_lo, 1.0, v3, 1.0
	v_mul_f32_e32 v5, v4, v2
	s_delay_alu instid0(VALU_DEP_1) | instskip(NEXT) | instid1(VALU_DEP_1)
	v_fma_f32 v7, -v0, v5, v4
	v_fmac_f32_e32 v5, v7, v2
	s_delay_alu instid0(VALU_DEP_1) | instskip(SKIP_1) | instid1(VALU_DEP_1)
	v_fma_f32 v0, -v0, v5, v4
	s_wait_alu 0xfffd
	v_div_fmas_f32 v0, v0, v2, v5
	s_delay_alu instid0(VALU_DEP_1)
	v_div_fixup_f32 v2, v0, v3, 1.0
.LBB23_35:
	v_cvt_f32_f16_e32 v7, v20
	v_add_nc_u32_e32 v0, s1, v1
	v_cvt_f32_f16_e32 v8, v21
	v_mov_b32_e32 v4, 0
	v_lshrrev_b32_e32 v1, 16, v20
	v_mul_f32_e32 v7, v2, v7
	v_lshl_add_u32 v3, v0, 7, v15
	v_lshrrev_b32_e32 v5, 16, v21
	v_mul_f32_e32 v9, v2, v8
	v_cvt_f32_f16_e32 v1, v1
	s_delay_alu instid0(VALU_DEP_4) | instskip(NEXT) | instid1(VALU_DEP_4)
	v_lshlrev_b64_e32 v[3:4], 2, v[3:4]
	v_cvt_f32_f16_e32 v5, v5
	s_delay_alu instid0(VALU_DEP_3) | instskip(NEXT) | instid1(VALU_DEP_2)
	v_mul_f32_e32 v8, v2, v1
	v_mul_f32_e32 v10, v2, v5
	s_delay_alu instid0(VALU_DEP_4)
	v_add_co_u32 v1, vcc_lo, s16, v3
	s_wait_alu 0xfffd
	v_add_co_ci_u32_e64 v2, null, s17, v4, vcc_lo
	global_store_b128 v[1:2], v[7:10], off
	s_and_saveexec_b32 s1, s0
	s_cbranch_execz .LBB23_37
; %bb.36:
	v_ashrrev_i32_e32 v1, 31, v0
	v_mov_b32_e32 v5, v12
	s_delay_alu instid0(VALU_DEP_2) | instskip(NEXT) | instid1(VALU_DEP_1)
	v_lshlrev_b64_e32 v[0:1], 3, v[0:1]
	v_add_co_u32 v0, vcc_lo, s18, v0
	s_wait_alu 0xfffd
	s_delay_alu instid0(VALU_DEP_2)
	v_add_co_ci_u32_e64 v1, null, s19, v1, vcc_lo
	global_store_b64 v[0:1], v[5:6], off
.LBB23_37:
	s_nop 0
	s_sendmsg sendmsg(MSG_DEALLOC_VGPRS)
	s_endpgm
	.section	.rodata,"a",@progbits
	.p2align	6, 0x0
	.amdhsa_kernel _ZL15flash_attn_tileILi192ELi128ELi1ELi8ELb1EEvPKcS1_S1_S1_S1_PKiPfP15HIP_vector_typeIfLj2EEffffjfiS5_IjLj3EEiiiiiiiiiiiliiliiiiil
		.amdhsa_group_segment_fixed_size 8192
		.amdhsa_private_segment_fixed_size 0
		.amdhsa_kernarg_size 464
		.amdhsa_user_sgpr_count 2
		.amdhsa_user_sgpr_dispatch_ptr 0
		.amdhsa_user_sgpr_queue_ptr 0
		.amdhsa_user_sgpr_kernarg_segment_ptr 1
		.amdhsa_user_sgpr_dispatch_id 0
		.amdhsa_user_sgpr_private_segment_size 0
		.amdhsa_wavefront_size32 1
		.amdhsa_uses_dynamic_stack 0
		.amdhsa_enable_private_segment 0
		.amdhsa_system_sgpr_workgroup_id_x 1
		.amdhsa_system_sgpr_workgroup_id_y 1
		.amdhsa_system_sgpr_workgroup_id_z 1
		.amdhsa_system_sgpr_workgroup_info 0
		.amdhsa_system_vgpr_workitem_id 1
		.amdhsa_next_free_vgpr 114
		.amdhsa_next_free_sgpr 43
		.amdhsa_reserve_vcc 1
		.amdhsa_float_round_mode_32 0
		.amdhsa_float_round_mode_16_64 0
		.amdhsa_float_denorm_mode_32 3
		.amdhsa_float_denorm_mode_16_64 3
		.amdhsa_fp16_overflow 0
		.amdhsa_workgroup_processor_mode 1
		.amdhsa_memory_ordered 1
		.amdhsa_forward_progress 1
		.amdhsa_inst_pref_size 71
		.amdhsa_round_robin_scheduling 0
		.amdhsa_exception_fp_ieee_invalid_op 0
		.amdhsa_exception_fp_denorm_src 0
		.amdhsa_exception_fp_ieee_div_zero 0
		.amdhsa_exception_fp_ieee_overflow 0
		.amdhsa_exception_fp_ieee_underflow 0
		.amdhsa_exception_fp_ieee_inexact 0
		.amdhsa_exception_int_div_zero 0
	.end_amdhsa_kernel
	.section	.text._ZL15flash_attn_tileILi192ELi128ELi1ELi8ELb1EEvPKcS1_S1_S1_S1_PKiPfP15HIP_vector_typeIfLj2EEffffjfiS5_IjLj3EEiiiiiiiiiiiliiliiiiil,"axG",@progbits,_ZL15flash_attn_tileILi192ELi128ELi1ELi8ELb1EEvPKcS1_S1_S1_S1_PKiPfP15HIP_vector_typeIfLj2EEffffjfiS5_IjLj3EEiiiiiiiiiiiliiliiiiil,comdat
.Lfunc_end23:
	.size	_ZL15flash_attn_tileILi192ELi128ELi1ELi8ELb1EEvPKcS1_S1_S1_S1_PKiPfP15HIP_vector_typeIfLj2EEffffjfiS5_IjLj3EEiiiiiiiiiiiliiliiiiil, .Lfunc_end23-_ZL15flash_attn_tileILi192ELi128ELi1ELi8ELb1EEvPKcS1_S1_S1_S1_PKiPfP15HIP_vector_typeIfLj2EEffffjfiS5_IjLj3EEiiiiiiiiiiiliiliiiiil
                                        ; -- End function
	.set _ZL15flash_attn_tileILi192ELi128ELi1ELi8ELb1EEvPKcS1_S1_S1_S1_PKiPfP15HIP_vector_typeIfLj2EEffffjfiS5_IjLj3EEiiiiiiiiiiiliiliiiiil.num_vgpr, 114
	.set _ZL15flash_attn_tileILi192ELi128ELi1ELi8ELb1EEvPKcS1_S1_S1_S1_PKiPfP15HIP_vector_typeIfLj2EEffffjfiS5_IjLj3EEiiiiiiiiiiiliiliiiiil.num_agpr, 0
	.set _ZL15flash_attn_tileILi192ELi128ELi1ELi8ELb1EEvPKcS1_S1_S1_S1_PKiPfP15HIP_vector_typeIfLj2EEffffjfiS5_IjLj3EEiiiiiiiiiiiliiliiiiil.numbered_sgpr, 43
	.set _ZL15flash_attn_tileILi192ELi128ELi1ELi8ELb1EEvPKcS1_S1_S1_S1_PKiPfP15HIP_vector_typeIfLj2EEffffjfiS5_IjLj3EEiiiiiiiiiiiliiliiiiil.num_named_barrier, 0
	.set _ZL15flash_attn_tileILi192ELi128ELi1ELi8ELb1EEvPKcS1_S1_S1_S1_PKiPfP15HIP_vector_typeIfLj2EEffffjfiS5_IjLj3EEiiiiiiiiiiiliiliiiiil.private_seg_size, 0
	.set _ZL15flash_attn_tileILi192ELi128ELi1ELi8ELb1EEvPKcS1_S1_S1_S1_PKiPfP15HIP_vector_typeIfLj2EEffffjfiS5_IjLj3EEiiiiiiiiiiiliiliiiiil.uses_vcc, 1
	.set _ZL15flash_attn_tileILi192ELi128ELi1ELi8ELb1EEvPKcS1_S1_S1_S1_PKiPfP15HIP_vector_typeIfLj2EEffffjfiS5_IjLj3EEiiiiiiiiiiiliiliiiiil.uses_flat_scratch, 0
	.set _ZL15flash_attn_tileILi192ELi128ELi1ELi8ELb1EEvPKcS1_S1_S1_S1_PKiPfP15HIP_vector_typeIfLj2EEffffjfiS5_IjLj3EEiiiiiiiiiiiliiliiiiil.has_dyn_sized_stack, 0
	.set _ZL15flash_attn_tileILi192ELi128ELi1ELi8ELb1EEvPKcS1_S1_S1_S1_PKiPfP15HIP_vector_typeIfLj2EEffffjfiS5_IjLj3EEiiiiiiiiiiiliiliiiiil.has_recursion, 0
	.set _ZL15flash_attn_tileILi192ELi128ELi1ELi8ELb1EEvPKcS1_S1_S1_S1_PKiPfP15HIP_vector_typeIfLj2EEffffjfiS5_IjLj3EEiiiiiiiiiiiliiliiiiil.has_indirect_call, 0
	.section	.AMDGPU.csdata,"",@progbits
; Kernel info:
; codeLenInByte = 9056
; TotalNumSgprs: 45
; NumVgprs: 114
; ScratchSize: 0
; MemoryBound: 0
; FloatMode: 240
; IeeeMode: 1
; LDSByteSize: 8192 bytes/workgroup (compile time only)
; SGPRBlocks: 0
; VGPRBlocks: 14
; NumSGPRsForWavesPerEU: 45
; NumVGPRsForWavesPerEU: 114
; Occupancy: 12
; WaveLimiterHint : 1
; COMPUTE_PGM_RSRC2:SCRATCH_EN: 0
; COMPUTE_PGM_RSRC2:USER_SGPR: 2
; COMPUTE_PGM_RSRC2:TRAP_HANDLER: 0
; COMPUTE_PGM_RSRC2:TGID_X_EN: 1
; COMPUTE_PGM_RSRC2:TGID_Y_EN: 1
; COMPUTE_PGM_RSRC2:TGID_Z_EN: 1
; COMPUTE_PGM_RSRC2:TIDIG_COMP_CNT: 1
	.section	.AMDGPU.gpr_maximums,"",@progbits
	.set amdgpu.max_num_vgpr, 0
	.set amdgpu.max_num_agpr, 0
	.set amdgpu.max_num_sgpr, 0
	.section	.AMDGPU.csdata,"",@progbits
	.type	__hip_cuid_6ba107074e3f5c64,@object ; @__hip_cuid_6ba107074e3f5c64
	.section	.bss,"aw",@nobits
	.globl	__hip_cuid_6ba107074e3f5c64
__hip_cuid_6ba107074e3f5c64:
	.byte	0                               ; 0x0
	.size	__hip_cuid_6ba107074e3f5c64, 1

	.ident	"AMD clang version 22.0.0git (https://github.com/RadeonOpenCompute/llvm-project roc-7.2.4 26084 f58b06dce1f9c15707c5f808fd002e18c2accf7e)"
	.section	".note.GNU-stack","",@progbits
	.addrsig
	.addrsig_sym __hip_cuid_6ba107074e3f5c64
	.amdgpu_metadata
---
amdhsa.kernels:
  - .args:
      - .address_space:  global
        .offset:         0
        .size:           8
        .value_kind:     global_buffer
      - .address_space:  global
        .offset:         8
        .size:           8
        .value_kind:     global_buffer
      - .address_space:  global
        .offset:         16
        .size:           8
        .value_kind:     global_buffer
      - .address_space:  global
        .offset:         24
        .size:           8
        .value_kind:     global_buffer
      - .address_space:  global
        .offset:         32
        .size:           8
        .value_kind:     global_buffer
      - .address_space:  global
        .offset:         40
        .size:           8
        .value_kind:     global_buffer
      - .address_space:  global
        .offset:         48
        .size:           8
        .value_kind:     global_buffer
      - .address_space:  global
        .offset:         56
        .size:           8
        .value_kind:     global_buffer
      - .offset:         64
        .size:           4
        .value_kind:     by_value
      - .offset:         68
        .size:           4
        .value_kind:     by_value
      - .offset:         72
        .size:           4
        .value_kind:     by_value
      - .offset:         76
        .size:           4
        .value_kind:     by_value
      - .offset:         80
        .size:           4
        .value_kind:     by_value
      - .offset:         84
        .size:           4
        .value_kind:     by_value
      - .offset:         88
        .size:           4
        .value_kind:     by_value
      - .offset:         92
        .size:           12
        .value_kind:     by_value
      - .offset:         104
        .size:           4
        .value_kind:     by_value
      - .offset:         108
        .size:           4
        .value_kind:     by_value
      - .offset:         112
        .size:           4
        .value_kind:     by_value
      - .offset:         116
        .size:           4
        .value_kind:     by_value
      - .offset:         120
        .size:           4
        .value_kind:     by_value
      - .offset:         124
        .size:           4
        .value_kind:     by_value
      - .offset:         128
        .size:           4
        .value_kind:     by_value
      - .offset:         132
        .size:           4
        .value_kind:     by_value
      - .offset:         136
        .size:           4
        .value_kind:     by_value
      - .offset:         140
        .size:           4
        .value_kind:     by_value
      - .offset:         144
        .size:           4
        .value_kind:     by_value
      - .offset:         152
        .size:           8
        .value_kind:     by_value
      - .offset:         160
        .size:           4
        .value_kind:     by_value
      - .offset:         164
        .size:           4
        .value_kind:     by_value
      - .offset:         168
        .size:           8
        .value_kind:     by_value
      - .offset:         176
        .size:           4
        .value_kind:     by_value
      - .offset:         180
        .size:           4
        .value_kind:     by_value
      - .offset:         184
        .size:           4
        .value_kind:     by_value
      - .offset:         188
        .size:           4
        .value_kind:     by_value
      - .offset:         192
        .size:           4
        .value_kind:     by_value
      - .offset:         200
        .size:           8
        .value_kind:     by_value
      - .offset:         208
        .size:           4
        .value_kind:     hidden_block_count_x
      - .offset:         212
        .size:           4
        .value_kind:     hidden_block_count_y
      - .offset:         216
        .size:           4
        .value_kind:     hidden_block_count_z
      - .offset:         220
        .size:           2
        .value_kind:     hidden_group_size_x
      - .offset:         222
        .size:           2
        .value_kind:     hidden_group_size_y
      - .offset:         224
        .size:           2
        .value_kind:     hidden_group_size_z
      - .offset:         226
        .size:           2
        .value_kind:     hidden_remainder_x
      - .offset:         228
        .size:           2
        .value_kind:     hidden_remainder_y
      - .offset:         230
        .size:           2
        .value_kind:     hidden_remainder_z
      - .offset:         248
        .size:           8
        .value_kind:     hidden_global_offset_x
      - .offset:         256
        .size:           8
        .value_kind:     hidden_global_offset_y
      - .offset:         264
        .size:           8
        .value_kind:     hidden_global_offset_z
      - .offset:         272
        .size:           2
        .value_kind:     hidden_grid_dims
    .group_segment_fixed_size: 25600
    .kernarg_segment_align: 8
    .kernarg_segment_size: 464
    .language:       OpenCL C
    .language_version:
      - 2
      - 0
    .max_flat_workgroup_size: 256
    .name:           _ZL15flash_attn_tileILi192ELi128ELi2ELi16ELb0EEvPKcS1_S1_S1_S1_PKiPfP15HIP_vector_typeIfLj2EEffffjfiS5_IjLj3EEiiiiiiiiiiiliiliiiiil
    .private_segment_fixed_size: 0
    .sgpr_count:     58
    .sgpr_spill_count: 0
    .symbol:         _ZL15flash_attn_tileILi192ELi128ELi2ELi16ELb0EEvPKcS1_S1_S1_S1_PKiPfP15HIP_vector_typeIfLj2EEffffjfiS5_IjLj3EEiiiiiiiiiiiliiliiiiil.kd
    .uniform_work_group_size: 1
    .uses_dynamic_stack: false
    .vgpr_count:     160
    .vgpr_spill_count: 0
    .wavefront_size: 32
    .workgroup_processor_mode: 1
  - .args:
      - .actual_access:  read_only
        .address_space:  global
        .offset:         0
        .size:           8
        .value_kind:     global_buffer
      - .actual_access:  write_only
        .address_space:  global
        .offset:         8
        .size:           8
        .value_kind:     global_buffer
      - .offset:         16
        .size:           4
        .value_kind:     by_value
      - .offset:         20
        .size:           4
        .value_kind:     by_value
      - .offset:         24
        .size:           4
        .value_kind:     by_value
      - .offset:         32
        .size:           4
        .value_kind:     hidden_block_count_x
      - .offset:         36
        .size:           4
        .value_kind:     hidden_block_count_y
      - .offset:         40
        .size:           4
        .value_kind:     hidden_block_count_z
      - .offset:         44
        .size:           2
        .value_kind:     hidden_group_size_x
      - .offset:         46
        .size:           2
        .value_kind:     hidden_group_size_y
      - .offset:         48
        .size:           2
        .value_kind:     hidden_group_size_z
      - .offset:         50
        .size:           2
        .value_kind:     hidden_remainder_x
      - .offset:         52
        .size:           2
        .value_kind:     hidden_remainder_y
      - .offset:         54
        .size:           2
        .value_kind:     hidden_remainder_z
      - .offset:         72
        .size:           8
        .value_kind:     hidden_global_offset_x
      - .offset:         80
        .size:           8
        .value_kind:     hidden_global_offset_y
      - .offset:         88
        .size:           8
        .value_kind:     hidden_global_offset_z
      - .offset:         96
        .size:           2
        .value_kind:     hidden_grid_dims
    .group_segment_fixed_size: 128
    .kernarg_segment_align: 8
    .kernarg_segment_size: 288
    .language:       OpenCL C
    .language_version:
      - 2
      - 0
    .max_flat_workgroup_size: 128
    .name:           _ZL25flash_attn_mask_to_KV_maxILi2EEvPK7__half2Piiii
    .private_segment_fixed_size: 0
    .sgpr_count:     15
    .sgpr_spill_count: 0
    .symbol:         _ZL25flash_attn_mask_to_KV_maxILi2EEvPK7__half2Piiii.kd
    .uniform_work_group_size: 1
    .uses_dynamic_stack: false
    .vgpr_count:     7
    .vgpr_spill_count: 0
    .wavefront_size: 32
    .workgroup_processor_mode: 1
  - .args:
      - .address_space:  global
        .offset:         0
        .size:           8
        .value_kind:     global_buffer
      - .address_space:  global
        .offset:         8
        .size:           8
        .value_kind:     global_buffer
      - .offset:         16
        .size:           4
        .value_kind:     by_value
      - .offset:         20
        .size:           4
        .value_kind:     by_value
      - .offset:         24
        .size:           4
        .value_kind:     by_value
      - .offset:         28
        .size:           4
        .value_kind:     by_value
      - .offset:         32
        .size:           4
        .value_kind:     by_value
      - .offset:         36
        .size:           4
        .value_kind:     by_value
      - .offset:         40
        .size:           12
        .value_kind:     by_value
      - .offset:         52
        .size:           12
        .value_kind:     by_value
      - .offset:         64
        .size:           12
        .value_kind:     by_value
    .group_segment_fixed_size: 0
    .kernarg_segment_align: 8
    .kernarg_segment_size: 76
    .language:       OpenCL C
    .language_version:
      - 2
      - 0
    .max_flat_workgroup_size: 128
    .name:           _ZL33flash_attn_stream_k_fixup_uniformILi128ELi2ELi16EEvPfPK15HIP_vector_typeIfLj2EEiiiiiiS1_IjLj3EES5_S5_
    .private_segment_fixed_size: 0
    .sgpr_count:     18
    .sgpr_spill_count: 0
    .symbol:         _ZL33flash_attn_stream_k_fixup_uniformILi128ELi2ELi16EEvPfPK15HIP_vector_typeIfLj2EEiiiiiiS1_IjLj3EES5_S5_.kd
    .uniform_work_group_size: 1
    .uses_dynamic_stack: false
    .vgpr_count:     11
    .vgpr_spill_count: 0
    .wavefront_size: 32
    .workgroup_processor_mode: 1
  - .args:
      - .address_space:  global
        .offset:         0
        .size:           8
        .value_kind:     global_buffer
      - .address_space:  global
        .offset:         8
        .size:           8
        .value_kind:     global_buffer
      - .offset:         16
        .size:           4
        .value_kind:     by_value
      - .offset:         20
        .size:           4
        .value_kind:     by_value
      - .offset:         24
        .size:           4
        .value_kind:     by_value
      - .offset:         28
        .size:           4
        .value_kind:     by_value
      - .offset:         32
        .size:           12
        .value_kind:     by_value
      - .offset:         44
        .size:           12
        .value_kind:     by_value
      - .offset:         56
        .size:           12
        .value_kind:     by_value
      - .offset:         68
        .size:           12
        .value_kind:     by_value
      - .offset:         80
        .size:           4
        .value_kind:     hidden_block_count_x
      - .offset:         84
        .size:           4
        .value_kind:     hidden_block_count_y
      - .offset:         88
        .size:           4
        .value_kind:     hidden_block_count_z
      - .offset:         92
        .size:           2
        .value_kind:     hidden_group_size_x
      - .offset:         94
        .size:           2
        .value_kind:     hidden_group_size_y
      - .offset:         96
        .size:           2
        .value_kind:     hidden_group_size_z
      - .offset:         98
        .size:           2
        .value_kind:     hidden_remainder_x
      - .offset:         100
        .size:           2
        .value_kind:     hidden_remainder_y
      - .offset:         102
        .size:           2
        .value_kind:     hidden_remainder_z
      - .offset:         120
        .size:           8
        .value_kind:     hidden_global_offset_x
      - .offset:         128
        .size:           8
        .value_kind:     hidden_global_offset_y
      - .offset:         136
        .size:           8
        .value_kind:     hidden_global_offset_z
      - .offset:         144
        .size:           2
        .value_kind:     hidden_grid_dims
    .group_segment_fixed_size: 0
    .kernarg_segment_align: 8
    .kernarg_segment_size: 336
    .language:       OpenCL C
    .language_version:
      - 2
      - 0
    .max_flat_workgroup_size: 128
    .name:           _ZL33flash_attn_stream_k_fixup_generalILi128ELi2ELi16EEvPfPK15HIP_vector_typeIfLj2EEiiiiS1_IjLj3EES5_S5_S5_
    .private_segment_fixed_size: 0
    .sgpr_count:     46
    .sgpr_spill_count: 0
    .symbol:         _ZL33flash_attn_stream_k_fixup_generalILi128ELi2ELi16EEvPfPK15HIP_vector_typeIfLj2EEiiiiS1_IjLj3EES5_S5_S5_.kd
    .uniform_work_group_size: 1
    .uses_dynamic_stack: false
    .vgpr_count:     9
    .vgpr_spill_count: 0
    .wavefront_size: 32
    .workgroup_processor_mode: 1
  - .args:
      - .address_space:  global
        .offset:         0
        .size:           8
        .value_kind:     global_buffer
      - .address_space:  global
        .offset:         8
        .size:           8
        .value_kind:     global_buffer
      - .address_space:  global
        .offset:         16
        .size:           8
        .value_kind:     global_buffer
      - .offset:         24
        .size:           4
        .value_kind:     by_value
      - .offset:         32
        .size:           4
        .value_kind:     hidden_block_count_x
      - .offset:         36
        .size:           4
        .value_kind:     hidden_block_count_y
      - .offset:         40
        .size:           4
        .value_kind:     hidden_block_count_z
      - .offset:         44
        .size:           2
        .value_kind:     hidden_group_size_x
      - .offset:         46
        .size:           2
        .value_kind:     hidden_group_size_y
      - .offset:         48
        .size:           2
        .value_kind:     hidden_group_size_z
      - .offset:         50
        .size:           2
        .value_kind:     hidden_remainder_x
      - .offset:         52
        .size:           2
        .value_kind:     hidden_remainder_y
      - .offset:         54
        .size:           2
        .value_kind:     hidden_remainder_z
      - .offset:         72
        .size:           8
        .value_kind:     hidden_global_offset_x
      - .offset:         80
        .size:           8
        .value_kind:     hidden_global_offset_y
      - .offset:         88
        .size:           8
        .value_kind:     hidden_global_offset_z
      - .offset:         96
        .size:           2
        .value_kind:     hidden_grid_dims
      - .offset:         152
        .size:           4
        .value_kind:     hidden_dynamic_lds_size
    .group_segment_fixed_size: 0
    .kernarg_segment_align: 8
    .kernarg_segment_size: 288
    .language:       OpenCL C
    .language_version:
      - 2
      - 0
    .max_flat_workgroup_size: 128
    .name:           _ZL26flash_attn_combine_resultsILi128EEvPKfPK15HIP_vector_typeIfLj2EEPfi
    .private_segment_fixed_size: 0
    .sgpr_count:     18
    .sgpr_spill_count: 0
    .symbol:         _ZL26flash_attn_combine_resultsILi128EEvPKfPK15HIP_vector_typeIfLj2EEPfi.kd
    .uniform_work_group_size: 1
    .uses_dynamic_stack: false
    .vgpr_count:     55
    .vgpr_spill_count: 0
    .wavefront_size: 32
    .workgroup_processor_mode: 1
  - .args:
      - .address_space:  global
        .offset:         0
        .size:           8
        .value_kind:     global_buffer
      - .address_space:  global
        .offset:         8
        .size:           8
        .value_kind:     global_buffer
      - .address_space:  global
        .offset:         16
        .size:           8
        .value_kind:     global_buffer
      - .address_space:  global
        .offset:         24
        .size:           8
        .value_kind:     global_buffer
      - .address_space:  global
        .offset:         32
        .size:           8
        .value_kind:     global_buffer
      - .address_space:  global
        .offset:         40
        .size:           8
        .value_kind:     global_buffer
      - .address_space:  global
        .offset:         48
        .size:           8
        .value_kind:     global_buffer
      - .address_space:  global
        .offset:         56
        .size:           8
        .value_kind:     global_buffer
      - .offset:         64
        .size:           4
        .value_kind:     by_value
      - .offset:         68
        .size:           4
        .value_kind:     by_value
      - .offset:         72
        .size:           4
        .value_kind:     by_value
      - .offset:         76
        .size:           4
        .value_kind:     by_value
      - .offset:         80
        .size:           4
        .value_kind:     by_value
      - .offset:         84
        .size:           4
        .value_kind:     by_value
      - .offset:         88
        .size:           4
        .value_kind:     by_value
      - .offset:         92
        .size:           12
        .value_kind:     by_value
      - .offset:         104
        .size:           4
        .value_kind:     by_value
      - .offset:         108
        .size:           4
        .value_kind:     by_value
      - .offset:         112
        .size:           4
        .value_kind:     by_value
      - .offset:         116
        .size:           4
        .value_kind:     by_value
      - .offset:         120
        .size:           4
        .value_kind:     by_value
      - .offset:         124
        .size:           4
        .value_kind:     by_value
      - .offset:         128
        .size:           4
        .value_kind:     by_value
      - .offset:         132
        .size:           4
        .value_kind:     by_value
      - .offset:         136
        .size:           4
        .value_kind:     by_value
      - .offset:         140
        .size:           4
        .value_kind:     by_value
      - .offset:         144
        .size:           4
        .value_kind:     by_value
      - .offset:         152
        .size:           8
        .value_kind:     by_value
      - .offset:         160
        .size:           4
        .value_kind:     by_value
      - .offset:         164
        .size:           4
        .value_kind:     by_value
      - .offset:         168
        .size:           8
        .value_kind:     by_value
      - .offset:         176
        .size:           4
        .value_kind:     by_value
      - .offset:         180
        .size:           4
        .value_kind:     by_value
      - .offset:         184
        .size:           4
        .value_kind:     by_value
      - .offset:         188
        .size:           4
        .value_kind:     by_value
      - .offset:         192
        .size:           4
        .value_kind:     by_value
      - .offset:         200
        .size:           8
        .value_kind:     by_value
      - .offset:         208
        .size:           4
        .value_kind:     hidden_block_count_x
      - .offset:         212
        .size:           4
        .value_kind:     hidden_block_count_y
      - .offset:         216
        .size:           4
        .value_kind:     hidden_block_count_z
      - .offset:         220
        .size:           2
        .value_kind:     hidden_group_size_x
      - .offset:         222
        .size:           2
        .value_kind:     hidden_group_size_y
      - .offset:         224
        .size:           2
        .value_kind:     hidden_group_size_z
      - .offset:         226
        .size:           2
        .value_kind:     hidden_remainder_x
      - .offset:         228
        .size:           2
        .value_kind:     hidden_remainder_y
      - .offset:         230
        .size:           2
        .value_kind:     hidden_remainder_z
      - .offset:         248
        .size:           8
        .value_kind:     hidden_global_offset_x
      - .offset:         256
        .size:           8
        .value_kind:     hidden_global_offset_y
      - .offset:         264
        .size:           8
        .value_kind:     hidden_global_offset_z
      - .offset:         272
        .size:           2
        .value_kind:     hidden_grid_dims
    .group_segment_fixed_size: 11776
    .kernarg_segment_align: 8
    .kernarg_segment_size: 464
    .language:       OpenCL C
    .language_version:
      - 2
      - 0
    .max_flat_workgroup_size: 256
    .name:           _ZL15flash_attn_tileILi192ELi128ELi1ELi16ELb0EEvPKcS1_S1_S1_S1_PKiPfP15HIP_vector_typeIfLj2EEffffjfiS5_IjLj3EEiiiiiiiiiiiliiliiiiil
    .private_segment_fixed_size: 0
    .sgpr_count:     45
    .sgpr_spill_count: 0
    .symbol:         _ZL15flash_attn_tileILi192ELi128ELi1ELi16ELb0EEvPKcS1_S1_S1_S1_PKiPfP15HIP_vector_typeIfLj2EEffffjfiS5_IjLj3EEiiiiiiiiiiiliiliiiiil.kd
    .uniform_work_group_size: 1
    .uses_dynamic_stack: false
    .vgpr_count:     99
    .vgpr_spill_count: 0
    .wavefront_size: 32
    .workgroup_processor_mode: 1
  - .args:
      - .actual_access:  read_only
        .address_space:  global
        .offset:         0
        .size:           8
        .value_kind:     global_buffer
      - .actual_access:  write_only
        .address_space:  global
        .offset:         8
        .size:           8
        .value_kind:     global_buffer
      - .offset:         16
        .size:           4
        .value_kind:     by_value
      - .offset:         20
        .size:           4
        .value_kind:     by_value
      - .offset:         24
        .size:           4
        .value_kind:     by_value
      - .offset:         32
        .size:           4
        .value_kind:     hidden_block_count_x
      - .offset:         36
        .size:           4
        .value_kind:     hidden_block_count_y
      - .offset:         40
        .size:           4
        .value_kind:     hidden_block_count_z
      - .offset:         44
        .size:           2
        .value_kind:     hidden_group_size_x
      - .offset:         46
        .size:           2
        .value_kind:     hidden_group_size_y
      - .offset:         48
        .size:           2
        .value_kind:     hidden_group_size_z
      - .offset:         50
        .size:           2
        .value_kind:     hidden_remainder_x
      - .offset:         52
        .size:           2
        .value_kind:     hidden_remainder_y
      - .offset:         54
        .size:           2
        .value_kind:     hidden_remainder_z
      - .offset:         72
        .size:           8
        .value_kind:     hidden_global_offset_x
      - .offset:         80
        .size:           8
        .value_kind:     hidden_global_offset_y
      - .offset:         88
        .size:           8
        .value_kind:     hidden_global_offset_z
      - .offset:         96
        .size:           2
        .value_kind:     hidden_grid_dims
    .group_segment_fixed_size: 128
    .kernarg_segment_align: 8
    .kernarg_segment_size: 288
    .language:       OpenCL C
    .language_version:
      - 2
      - 0
    .max_flat_workgroup_size: 128
    .name:           _ZL25flash_attn_mask_to_KV_maxILi1EEvPK7__half2Piiii
    .private_segment_fixed_size: 0
    .sgpr_count:     13
    .sgpr_spill_count: 0
    .symbol:         _ZL25flash_attn_mask_to_KV_maxILi1EEvPK7__half2Piiii.kd
    .uniform_work_group_size: 1
    .uses_dynamic_stack: false
    .vgpr_count:     7
    .vgpr_spill_count: 0
    .wavefront_size: 32
    .workgroup_processor_mode: 1
  - .args:
      - .address_space:  global
        .offset:         0
        .size:           8
        .value_kind:     global_buffer
      - .address_space:  global
        .offset:         8
        .size:           8
        .value_kind:     global_buffer
      - .offset:         16
        .size:           4
        .value_kind:     by_value
      - .offset:         20
        .size:           4
        .value_kind:     by_value
      - .offset:         24
        .size:           4
        .value_kind:     by_value
      - .offset:         28
        .size:           4
        .value_kind:     by_value
      - .offset:         32
        .size:           4
        .value_kind:     by_value
      - .offset:         36
        .size:           4
        .value_kind:     by_value
      - .offset:         40
        .size:           12
        .value_kind:     by_value
      - .offset:         52
        .size:           12
        .value_kind:     by_value
      - .offset:         64
        .size:           12
        .value_kind:     by_value
    .group_segment_fixed_size: 0
    .kernarg_segment_align: 8
    .kernarg_segment_size: 76
    .language:       OpenCL C
    .language_version:
      - 2
      - 0
    .max_flat_workgroup_size: 128
    .name:           _ZL33flash_attn_stream_k_fixup_uniformILi128ELi1ELi16EEvPfPK15HIP_vector_typeIfLj2EEiiiiiiS1_IjLj3EES5_S5_
    .private_segment_fixed_size: 0
    .sgpr_count:     22
    .sgpr_spill_count: 0
    .symbol:         _ZL33flash_attn_stream_k_fixup_uniformILi128ELi1ELi16EEvPfPK15HIP_vector_typeIfLj2EEiiiiiiS1_IjLj3EES5_S5_.kd
    .uniform_work_group_size: 1
    .uses_dynamic_stack: false
    .vgpr_count:     11
    .vgpr_spill_count: 0
    .wavefront_size: 32
    .workgroup_processor_mode: 1
  - .args:
      - .address_space:  global
        .offset:         0
        .size:           8
        .value_kind:     global_buffer
      - .address_space:  global
        .offset:         8
        .size:           8
        .value_kind:     global_buffer
      - .offset:         16
        .size:           4
        .value_kind:     by_value
      - .offset:         20
        .size:           4
        .value_kind:     by_value
      - .offset:         24
        .size:           4
        .value_kind:     by_value
      - .offset:         28
        .size:           4
        .value_kind:     by_value
      - .offset:         32
        .size:           12
        .value_kind:     by_value
      - .offset:         44
        .size:           12
        .value_kind:     by_value
      - .offset:         56
        .size:           12
        .value_kind:     by_value
      - .offset:         68
        .size:           12
        .value_kind:     by_value
      - .offset:         80
        .size:           4
        .value_kind:     hidden_block_count_x
      - .offset:         84
        .size:           4
        .value_kind:     hidden_block_count_y
      - .offset:         88
        .size:           4
        .value_kind:     hidden_block_count_z
      - .offset:         92
        .size:           2
        .value_kind:     hidden_group_size_x
      - .offset:         94
        .size:           2
        .value_kind:     hidden_group_size_y
      - .offset:         96
        .size:           2
        .value_kind:     hidden_group_size_z
      - .offset:         98
        .size:           2
        .value_kind:     hidden_remainder_x
      - .offset:         100
        .size:           2
        .value_kind:     hidden_remainder_y
      - .offset:         102
        .size:           2
        .value_kind:     hidden_remainder_z
      - .offset:         120
        .size:           8
        .value_kind:     hidden_global_offset_x
      - .offset:         128
        .size:           8
        .value_kind:     hidden_global_offset_y
      - .offset:         136
        .size:           8
        .value_kind:     hidden_global_offset_z
      - .offset:         144
        .size:           2
        .value_kind:     hidden_grid_dims
    .group_segment_fixed_size: 0
    .kernarg_segment_align: 8
    .kernarg_segment_size: 336
    .language:       OpenCL C
    .language_version:
      - 2
      - 0
    .max_flat_workgroup_size: 128
    .name:           _ZL33flash_attn_stream_k_fixup_generalILi128ELi1ELi16EEvPfPK15HIP_vector_typeIfLj2EEiiiiS1_IjLj3EES5_S5_S5_
    .private_segment_fixed_size: 0
    .sgpr_count:     46
    .sgpr_spill_count: 0
    .symbol:         _ZL33flash_attn_stream_k_fixup_generalILi128ELi1ELi16EEvPfPK15HIP_vector_typeIfLj2EEiiiiS1_IjLj3EES5_S5_S5_.kd
    .uniform_work_group_size: 1
    .uses_dynamic_stack: false
    .vgpr_count:     9
    .vgpr_spill_count: 0
    .wavefront_size: 32
    .workgroup_processor_mode: 1
  - .args:
      - .address_space:  global
        .offset:         0
        .size:           8
        .value_kind:     global_buffer
      - .address_space:  global
        .offset:         8
        .size:           8
        .value_kind:     global_buffer
      - .address_space:  global
        .offset:         16
        .size:           8
        .value_kind:     global_buffer
      - .address_space:  global
        .offset:         24
        .size:           8
        .value_kind:     global_buffer
      - .address_space:  global
        .offset:         32
        .size:           8
        .value_kind:     global_buffer
      - .address_space:  global
        .offset:         40
        .size:           8
        .value_kind:     global_buffer
      - .address_space:  global
        .offset:         48
        .size:           8
        .value_kind:     global_buffer
      - .address_space:  global
        .offset:         56
        .size:           8
        .value_kind:     global_buffer
      - .offset:         64
        .size:           4
        .value_kind:     by_value
      - .offset:         68
        .size:           4
        .value_kind:     by_value
      - .offset:         72
        .size:           4
        .value_kind:     by_value
      - .offset:         76
        .size:           4
        .value_kind:     by_value
      - .offset:         80
        .size:           4
        .value_kind:     by_value
      - .offset:         84
        .size:           4
        .value_kind:     by_value
      - .offset:         88
        .size:           4
        .value_kind:     by_value
      - .offset:         92
        .size:           12
        .value_kind:     by_value
      - .offset:         104
        .size:           4
        .value_kind:     by_value
      - .offset:         108
        .size:           4
        .value_kind:     by_value
      - .offset:         112
        .size:           4
        .value_kind:     by_value
      - .offset:         116
        .size:           4
        .value_kind:     by_value
      - .offset:         120
        .size:           4
        .value_kind:     by_value
      - .offset:         124
        .size:           4
        .value_kind:     by_value
      - .offset:         128
        .size:           4
        .value_kind:     by_value
      - .offset:         132
        .size:           4
        .value_kind:     by_value
      - .offset:         136
        .size:           4
        .value_kind:     by_value
      - .offset:         140
        .size:           4
        .value_kind:     by_value
      - .offset:         144
        .size:           4
        .value_kind:     by_value
      - .offset:         152
        .size:           8
        .value_kind:     by_value
      - .offset:         160
        .size:           4
        .value_kind:     by_value
      - .offset:         164
        .size:           4
        .value_kind:     by_value
      - .offset:         168
        .size:           8
        .value_kind:     by_value
      - .offset:         176
        .size:           4
        .value_kind:     by_value
      - .offset:         180
        .size:           4
        .value_kind:     by_value
      - .offset:         184
        .size:           4
        .value_kind:     by_value
      - .offset:         188
        .size:           4
        .value_kind:     by_value
      - .offset:         192
        .size:           4
        .value_kind:     by_value
      - .offset:         200
        .size:           8
        .value_kind:     by_value
      - .offset:         208
        .size:           4
        .value_kind:     hidden_block_count_x
      - .offset:         212
        .size:           4
        .value_kind:     hidden_block_count_y
      - .offset:         216
        .size:           4
        .value_kind:     hidden_block_count_z
      - .offset:         220
        .size:           2
        .value_kind:     hidden_group_size_x
      - .offset:         222
        .size:           2
        .value_kind:     hidden_group_size_y
      - .offset:         224
        .size:           2
        .value_kind:     hidden_group_size_z
      - .offset:         226
        .size:           2
        .value_kind:     hidden_remainder_x
      - .offset:         228
        .size:           2
        .value_kind:     hidden_remainder_y
      - .offset:         230
        .size:           2
        .value_kind:     hidden_remainder_z
      - .offset:         248
        .size:           8
        .value_kind:     hidden_global_offset_x
      - .offset:         256
        .size:           8
        .value_kind:     hidden_global_offset_y
      - .offset:         264
        .size:           8
        .value_kind:     hidden_global_offset_z
      - .offset:         272
        .size:           2
        .value_kind:     hidden_grid_dims
    .group_segment_fixed_size: 25600
    .kernarg_segment_align: 8
    .kernarg_segment_size: 464
    .language:       OpenCL C
    .language_version:
      - 2
      - 0
    .max_flat_workgroup_size: 256
    .name:           _ZL15flash_attn_tileILi192ELi128ELi4ELi8ELb0EEvPKcS1_S1_S1_S1_PKiPfP15HIP_vector_typeIfLj2EEffffjfiS5_IjLj3EEiiiiiiiiiiiliiliiiiil
    .private_segment_fixed_size: 0
    .sgpr_count:     58
    .sgpr_spill_count: 0
    .symbol:         _ZL15flash_attn_tileILi192ELi128ELi4ELi8ELb0EEvPKcS1_S1_S1_S1_PKiPfP15HIP_vector_typeIfLj2EEffffjfiS5_IjLj3EEiiiiiiiiiiiliiliiiiil.kd
    .uniform_work_group_size: 1
    .uses_dynamic_stack: false
    .vgpr_count:     160
    .vgpr_spill_count: 0
    .wavefront_size: 32
    .workgroup_processor_mode: 1
  - .args:
      - .actual_access:  read_only
        .address_space:  global
        .offset:         0
        .size:           8
        .value_kind:     global_buffer
      - .actual_access:  write_only
        .address_space:  global
        .offset:         8
        .size:           8
        .value_kind:     global_buffer
      - .offset:         16
        .size:           4
        .value_kind:     by_value
      - .offset:         20
        .size:           4
        .value_kind:     by_value
      - .offset:         24
        .size:           4
        .value_kind:     by_value
      - .offset:         32
        .size:           4
        .value_kind:     hidden_block_count_x
      - .offset:         36
        .size:           4
        .value_kind:     hidden_block_count_y
      - .offset:         40
        .size:           4
        .value_kind:     hidden_block_count_z
      - .offset:         44
        .size:           2
        .value_kind:     hidden_group_size_x
      - .offset:         46
        .size:           2
        .value_kind:     hidden_group_size_y
      - .offset:         48
        .size:           2
        .value_kind:     hidden_group_size_z
      - .offset:         50
        .size:           2
        .value_kind:     hidden_remainder_x
      - .offset:         52
        .size:           2
        .value_kind:     hidden_remainder_y
      - .offset:         54
        .size:           2
        .value_kind:     hidden_remainder_z
      - .offset:         72
        .size:           8
        .value_kind:     hidden_global_offset_x
      - .offset:         80
        .size:           8
        .value_kind:     hidden_global_offset_y
      - .offset:         88
        .size:           8
        .value_kind:     hidden_global_offset_z
      - .offset:         96
        .size:           2
        .value_kind:     hidden_grid_dims
    .group_segment_fixed_size: 128
    .kernarg_segment_align: 8
    .kernarg_segment_size: 288
    .language:       OpenCL C
    .language_version:
      - 2
      - 0
    .max_flat_workgroup_size: 128
    .name:           _ZL25flash_attn_mask_to_KV_maxILi4EEvPK7__half2Piiii
    .private_segment_fixed_size: 0
    .sgpr_count:     19
    .sgpr_spill_count: 0
    .symbol:         _ZL25flash_attn_mask_to_KV_maxILi4EEvPK7__half2Piiii.kd
    .uniform_work_group_size: 1
    .uses_dynamic_stack: false
    .vgpr_count:     9
    .vgpr_spill_count: 0
    .wavefront_size: 32
    .workgroup_processor_mode: 1
  - .args:
      - .address_space:  global
        .offset:         0
        .size:           8
        .value_kind:     global_buffer
      - .address_space:  global
        .offset:         8
        .size:           8
        .value_kind:     global_buffer
      - .offset:         16
        .size:           4
        .value_kind:     by_value
      - .offset:         20
        .size:           4
        .value_kind:     by_value
      - .offset:         24
        .size:           4
        .value_kind:     by_value
      - .offset:         28
        .size:           4
        .value_kind:     by_value
      - .offset:         32
        .size:           4
        .value_kind:     by_value
      - .offset:         36
        .size:           4
        .value_kind:     by_value
      - .offset:         40
        .size:           12
        .value_kind:     by_value
      - .offset:         52
        .size:           12
        .value_kind:     by_value
      - .offset:         64
        .size:           12
        .value_kind:     by_value
    .group_segment_fixed_size: 0
    .kernarg_segment_align: 8
    .kernarg_segment_size: 76
    .language:       OpenCL C
    .language_version:
      - 2
      - 0
    .max_flat_workgroup_size: 128
    .name:           _ZL33flash_attn_stream_k_fixup_uniformILi128ELi4ELi8EEvPfPK15HIP_vector_typeIfLj2EEiiiiiiS1_IjLj3EES5_S5_
    .private_segment_fixed_size: 0
    .sgpr_count:     18
    .sgpr_spill_count: 0
    .symbol:         _ZL33flash_attn_stream_k_fixup_uniformILi128ELi4ELi8EEvPfPK15HIP_vector_typeIfLj2EEiiiiiiS1_IjLj3EES5_S5_.kd
    .uniform_work_group_size: 1
    .uses_dynamic_stack: false
    .vgpr_count:     11
    .vgpr_spill_count: 0
    .wavefront_size: 32
    .workgroup_processor_mode: 1
  - .args:
      - .address_space:  global
        .offset:         0
        .size:           8
        .value_kind:     global_buffer
      - .address_space:  global
        .offset:         8
        .size:           8
        .value_kind:     global_buffer
      - .offset:         16
        .size:           4
        .value_kind:     by_value
      - .offset:         20
        .size:           4
        .value_kind:     by_value
      - .offset:         24
        .size:           4
        .value_kind:     by_value
      - .offset:         28
        .size:           4
        .value_kind:     by_value
      - .offset:         32
        .size:           12
        .value_kind:     by_value
      - .offset:         44
        .size:           12
        .value_kind:     by_value
      - .offset:         56
        .size:           12
        .value_kind:     by_value
      - .offset:         68
        .size:           12
        .value_kind:     by_value
      - .offset:         80
        .size:           4
        .value_kind:     hidden_block_count_x
      - .offset:         84
        .size:           4
        .value_kind:     hidden_block_count_y
      - .offset:         88
        .size:           4
        .value_kind:     hidden_block_count_z
      - .offset:         92
        .size:           2
        .value_kind:     hidden_group_size_x
      - .offset:         94
        .size:           2
        .value_kind:     hidden_group_size_y
      - .offset:         96
        .size:           2
        .value_kind:     hidden_group_size_z
      - .offset:         98
        .size:           2
        .value_kind:     hidden_remainder_x
      - .offset:         100
        .size:           2
        .value_kind:     hidden_remainder_y
      - .offset:         102
        .size:           2
        .value_kind:     hidden_remainder_z
      - .offset:         120
        .size:           8
        .value_kind:     hidden_global_offset_x
      - .offset:         128
        .size:           8
        .value_kind:     hidden_global_offset_y
      - .offset:         136
        .size:           8
        .value_kind:     hidden_global_offset_z
      - .offset:         144
        .size:           2
        .value_kind:     hidden_grid_dims
    .group_segment_fixed_size: 0
    .kernarg_segment_align: 8
    .kernarg_segment_size: 336
    .language:       OpenCL C
    .language_version:
      - 2
      - 0
    .max_flat_workgroup_size: 128
    .name:           _ZL33flash_attn_stream_k_fixup_generalILi128ELi4ELi8EEvPfPK15HIP_vector_typeIfLj2EEiiiiS1_IjLj3EES5_S5_S5_
    .private_segment_fixed_size: 0
    .sgpr_count:     46
    .sgpr_spill_count: 0
    .symbol:         _ZL33flash_attn_stream_k_fixup_generalILi128ELi4ELi8EEvPfPK15HIP_vector_typeIfLj2EEiiiiS1_IjLj3EES5_S5_S5_.kd
    .uniform_work_group_size: 1
    .uses_dynamic_stack: false
    .vgpr_count:     9
    .vgpr_spill_count: 0
    .wavefront_size: 32
    .workgroup_processor_mode: 1
  - .args:
      - .address_space:  global
        .offset:         0
        .size:           8
        .value_kind:     global_buffer
      - .address_space:  global
        .offset:         8
        .size:           8
        .value_kind:     global_buffer
      - .address_space:  global
        .offset:         16
        .size:           8
        .value_kind:     global_buffer
      - .address_space:  global
        .offset:         24
        .size:           8
        .value_kind:     global_buffer
      - .address_space:  global
        .offset:         32
        .size:           8
        .value_kind:     global_buffer
      - .address_space:  global
        .offset:         40
        .size:           8
        .value_kind:     global_buffer
      - .address_space:  global
        .offset:         48
        .size:           8
        .value_kind:     global_buffer
      - .address_space:  global
        .offset:         56
        .size:           8
        .value_kind:     global_buffer
      - .offset:         64
        .size:           4
        .value_kind:     by_value
      - .offset:         68
        .size:           4
        .value_kind:     by_value
      - .offset:         72
        .size:           4
        .value_kind:     by_value
      - .offset:         76
        .size:           4
        .value_kind:     by_value
      - .offset:         80
        .size:           4
        .value_kind:     by_value
      - .offset:         84
        .size:           4
        .value_kind:     by_value
      - .offset:         88
        .size:           4
        .value_kind:     by_value
      - .offset:         92
        .size:           12
        .value_kind:     by_value
      - .offset:         104
        .size:           4
        .value_kind:     by_value
      - .offset:         108
        .size:           4
        .value_kind:     by_value
      - .offset:         112
        .size:           4
        .value_kind:     by_value
      - .offset:         116
        .size:           4
        .value_kind:     by_value
      - .offset:         120
        .size:           4
        .value_kind:     by_value
      - .offset:         124
        .size:           4
        .value_kind:     by_value
      - .offset:         128
        .size:           4
        .value_kind:     by_value
      - .offset:         132
        .size:           4
        .value_kind:     by_value
      - .offset:         136
        .size:           4
        .value_kind:     by_value
      - .offset:         140
        .size:           4
        .value_kind:     by_value
      - .offset:         144
        .size:           4
        .value_kind:     by_value
      - .offset:         152
        .size:           8
        .value_kind:     by_value
      - .offset:         160
        .size:           4
        .value_kind:     by_value
      - .offset:         164
        .size:           4
        .value_kind:     by_value
      - .offset:         168
        .size:           8
        .value_kind:     by_value
      - .offset:         176
        .size:           4
        .value_kind:     by_value
      - .offset:         180
        .size:           4
        .value_kind:     by_value
      - .offset:         184
        .size:           4
        .value_kind:     by_value
      - .offset:         188
        .size:           4
        .value_kind:     by_value
      - .offset:         192
        .size:           4
        .value_kind:     by_value
      - .offset:         200
        .size:           8
        .value_kind:     by_value
      - .offset:         208
        .size:           4
        .value_kind:     hidden_block_count_x
      - .offset:         212
        .size:           4
        .value_kind:     hidden_block_count_y
      - .offset:         216
        .size:           4
        .value_kind:     hidden_block_count_z
      - .offset:         220
        .size:           2
        .value_kind:     hidden_group_size_x
      - .offset:         222
        .size:           2
        .value_kind:     hidden_group_size_y
      - .offset:         224
        .size:           2
        .value_kind:     hidden_group_size_z
      - .offset:         226
        .size:           2
        .value_kind:     hidden_remainder_x
      - .offset:         228
        .size:           2
        .value_kind:     hidden_remainder_y
      - .offset:         230
        .size:           2
        .value_kind:     hidden_remainder_z
      - .offset:         248
        .size:           8
        .value_kind:     hidden_global_offset_x
      - .offset:         256
        .size:           8
        .value_kind:     hidden_global_offset_y
      - .offset:         264
        .size:           8
        .value_kind:     hidden_global_offset_z
      - .offset:         272
        .size:           2
        .value_kind:     hidden_grid_dims
    .group_segment_fixed_size: 11776
    .kernarg_segment_align: 8
    .kernarg_segment_size: 464
    .language:       OpenCL C
    .language_version:
      - 2
      - 0
    .max_flat_workgroup_size: 256
    .name:           _ZL15flash_attn_tileILi192ELi128ELi2ELi8ELb0EEvPKcS1_S1_S1_S1_PKiPfP15HIP_vector_typeIfLj2EEffffjfiS5_IjLj3EEiiiiiiiiiiiliiliiiiil
    .private_segment_fixed_size: 0
    .sgpr_count:     45
    .sgpr_spill_count: 0
    .symbol:         _ZL15flash_attn_tileILi192ELi128ELi2ELi8ELb0EEvPKcS1_S1_S1_S1_PKiPfP15HIP_vector_typeIfLj2EEffffjfiS5_IjLj3EEiiiiiiiiiiiliiliiiiil.kd
    .uniform_work_group_size: 1
    .uses_dynamic_stack: false
    .vgpr_count:     97
    .vgpr_spill_count: 0
    .wavefront_size: 32
    .workgroup_processor_mode: 1
  - .args:
      - .address_space:  global
        .offset:         0
        .size:           8
        .value_kind:     global_buffer
      - .address_space:  global
        .offset:         8
        .size:           8
        .value_kind:     global_buffer
      - .offset:         16
        .size:           4
        .value_kind:     by_value
      - .offset:         20
        .size:           4
        .value_kind:     by_value
      - .offset:         24
        .size:           4
        .value_kind:     by_value
      - .offset:         28
        .size:           4
        .value_kind:     by_value
      - .offset:         32
        .size:           4
        .value_kind:     by_value
      - .offset:         36
        .size:           4
        .value_kind:     by_value
      - .offset:         40
        .size:           12
        .value_kind:     by_value
      - .offset:         52
        .size:           12
        .value_kind:     by_value
      - .offset:         64
        .size:           12
        .value_kind:     by_value
    .group_segment_fixed_size: 0
    .kernarg_segment_align: 8
    .kernarg_segment_size: 76
    .language:       OpenCL C
    .language_version:
      - 2
      - 0
    .max_flat_workgroup_size: 128
    .name:           _ZL33flash_attn_stream_k_fixup_uniformILi128ELi2ELi8EEvPfPK15HIP_vector_typeIfLj2EEiiiiiiS1_IjLj3EES5_S5_
    .private_segment_fixed_size: 0
    .sgpr_count:     18
    .sgpr_spill_count: 0
    .symbol:         _ZL33flash_attn_stream_k_fixup_uniformILi128ELi2ELi8EEvPfPK15HIP_vector_typeIfLj2EEiiiiiiS1_IjLj3EES5_S5_.kd
    .uniform_work_group_size: 1
    .uses_dynamic_stack: false
    .vgpr_count:     11
    .vgpr_spill_count: 0
    .wavefront_size: 32
    .workgroup_processor_mode: 1
  - .args:
      - .address_space:  global
        .offset:         0
        .size:           8
        .value_kind:     global_buffer
      - .address_space:  global
        .offset:         8
        .size:           8
        .value_kind:     global_buffer
      - .offset:         16
        .size:           4
        .value_kind:     by_value
      - .offset:         20
        .size:           4
        .value_kind:     by_value
      - .offset:         24
        .size:           4
        .value_kind:     by_value
      - .offset:         28
        .size:           4
        .value_kind:     by_value
      - .offset:         32
        .size:           12
        .value_kind:     by_value
      - .offset:         44
        .size:           12
        .value_kind:     by_value
      - .offset:         56
        .size:           12
        .value_kind:     by_value
      - .offset:         68
        .size:           12
        .value_kind:     by_value
      - .offset:         80
        .size:           4
        .value_kind:     hidden_block_count_x
      - .offset:         84
        .size:           4
        .value_kind:     hidden_block_count_y
      - .offset:         88
        .size:           4
        .value_kind:     hidden_block_count_z
      - .offset:         92
        .size:           2
        .value_kind:     hidden_group_size_x
      - .offset:         94
        .size:           2
        .value_kind:     hidden_group_size_y
      - .offset:         96
        .size:           2
        .value_kind:     hidden_group_size_z
      - .offset:         98
        .size:           2
        .value_kind:     hidden_remainder_x
      - .offset:         100
        .size:           2
        .value_kind:     hidden_remainder_y
      - .offset:         102
        .size:           2
        .value_kind:     hidden_remainder_z
      - .offset:         120
        .size:           8
        .value_kind:     hidden_global_offset_x
      - .offset:         128
        .size:           8
        .value_kind:     hidden_global_offset_y
      - .offset:         136
        .size:           8
        .value_kind:     hidden_global_offset_z
      - .offset:         144
        .size:           2
        .value_kind:     hidden_grid_dims
    .group_segment_fixed_size: 0
    .kernarg_segment_align: 8
    .kernarg_segment_size: 336
    .language:       OpenCL C
    .language_version:
      - 2
      - 0
    .max_flat_workgroup_size: 128
    .name:           _ZL33flash_attn_stream_k_fixup_generalILi128ELi2ELi8EEvPfPK15HIP_vector_typeIfLj2EEiiiiS1_IjLj3EES5_S5_S5_
    .private_segment_fixed_size: 0
    .sgpr_count:     46
    .sgpr_spill_count: 0
    .symbol:         _ZL33flash_attn_stream_k_fixup_generalILi128ELi2ELi8EEvPfPK15HIP_vector_typeIfLj2EEiiiiS1_IjLj3EES5_S5_S5_.kd
    .uniform_work_group_size: 1
    .uses_dynamic_stack: false
    .vgpr_count:     9
    .vgpr_spill_count: 0
    .wavefront_size: 32
    .workgroup_processor_mode: 1
  - .args:
      - .address_space:  global
        .offset:         0
        .size:           8
        .value_kind:     global_buffer
      - .address_space:  global
        .offset:         8
        .size:           8
        .value_kind:     global_buffer
      - .address_space:  global
        .offset:         16
        .size:           8
        .value_kind:     global_buffer
      - .address_space:  global
        .offset:         24
        .size:           8
        .value_kind:     global_buffer
      - .address_space:  global
        .offset:         32
        .size:           8
        .value_kind:     global_buffer
      - .address_space:  global
        .offset:         40
        .size:           8
        .value_kind:     global_buffer
      - .address_space:  global
        .offset:         48
        .size:           8
        .value_kind:     global_buffer
      - .address_space:  global
        .offset:         56
        .size:           8
        .value_kind:     global_buffer
      - .offset:         64
        .size:           4
        .value_kind:     by_value
      - .offset:         68
        .size:           4
        .value_kind:     by_value
      - .offset:         72
        .size:           4
        .value_kind:     by_value
      - .offset:         76
        .size:           4
        .value_kind:     by_value
      - .offset:         80
        .size:           4
        .value_kind:     by_value
      - .offset:         84
        .size:           4
        .value_kind:     by_value
      - .offset:         88
        .size:           4
        .value_kind:     by_value
      - .offset:         92
        .size:           12
        .value_kind:     by_value
      - .offset:         104
        .size:           4
        .value_kind:     by_value
      - .offset:         108
        .size:           4
        .value_kind:     by_value
      - .offset:         112
        .size:           4
        .value_kind:     by_value
      - .offset:         116
        .size:           4
        .value_kind:     by_value
      - .offset:         120
        .size:           4
        .value_kind:     by_value
      - .offset:         124
        .size:           4
        .value_kind:     by_value
      - .offset:         128
        .size:           4
        .value_kind:     by_value
      - .offset:         132
        .size:           4
        .value_kind:     by_value
      - .offset:         136
        .size:           4
        .value_kind:     by_value
      - .offset:         140
        .size:           4
        .value_kind:     by_value
      - .offset:         144
        .size:           4
        .value_kind:     by_value
      - .offset:         152
        .size:           8
        .value_kind:     by_value
      - .offset:         160
        .size:           4
        .value_kind:     by_value
      - .offset:         164
        .size:           4
        .value_kind:     by_value
      - .offset:         168
        .size:           8
        .value_kind:     by_value
      - .offset:         176
        .size:           4
        .value_kind:     by_value
      - .offset:         180
        .size:           4
        .value_kind:     by_value
      - .offset:         184
        .size:           4
        .value_kind:     by_value
      - .offset:         188
        .size:           4
        .value_kind:     by_value
      - .offset:         192
        .size:           4
        .value_kind:     by_value
      - .offset:         200
        .size:           8
        .value_kind:     by_value
      - .offset:         208
        .size:           4
        .value_kind:     hidden_block_count_x
      - .offset:         212
        .size:           4
        .value_kind:     hidden_block_count_y
      - .offset:         216
        .size:           4
        .value_kind:     hidden_block_count_z
      - .offset:         220
        .size:           2
        .value_kind:     hidden_group_size_x
      - .offset:         222
        .size:           2
        .value_kind:     hidden_group_size_y
      - .offset:         224
        .size:           2
        .value_kind:     hidden_group_size_z
      - .offset:         226
        .size:           2
        .value_kind:     hidden_remainder_x
      - .offset:         228
        .size:           2
        .value_kind:     hidden_remainder_y
      - .offset:         230
        .size:           2
        .value_kind:     hidden_remainder_z
      - .offset:         248
        .size:           8
        .value_kind:     hidden_global_offset_x
      - .offset:         256
        .size:           8
        .value_kind:     hidden_global_offset_y
      - .offset:         264
        .size:           8
        .value_kind:     hidden_global_offset_z
      - .offset:         272
        .size:           2
        .value_kind:     hidden_grid_dims
    .group_segment_fixed_size: 8192
    .kernarg_segment_align: 8
    .kernarg_segment_size: 464
    .language:       OpenCL C
    .language_version:
      - 2
      - 0
    .max_flat_workgroup_size: 128
    .name:           _ZL15flash_attn_tileILi192ELi128ELi1ELi8ELb0EEvPKcS1_S1_S1_S1_PKiPfP15HIP_vector_typeIfLj2EEffffjfiS5_IjLj3EEiiiiiiiiiiiliiliiiiil
    .private_segment_fixed_size: 0
    .sgpr_count:     45
    .sgpr_spill_count: 0
    .symbol:         _ZL15flash_attn_tileILi192ELi128ELi1ELi8ELb0EEvPKcS1_S1_S1_S1_PKiPfP15HIP_vector_typeIfLj2EEffffjfiS5_IjLj3EEiiiiiiiiiiiliiliiiiil.kd
    .uniform_work_group_size: 1
    .uses_dynamic_stack: false
    .vgpr_count:     100
    .vgpr_spill_count: 0
    .wavefront_size: 32
    .workgroup_processor_mode: 1
  - .args:
      - .address_space:  global
        .offset:         0
        .size:           8
        .value_kind:     global_buffer
      - .address_space:  global
        .offset:         8
        .size:           8
        .value_kind:     global_buffer
      - .offset:         16
        .size:           4
        .value_kind:     by_value
      - .offset:         20
        .size:           4
        .value_kind:     by_value
      - .offset:         24
        .size:           4
        .value_kind:     by_value
      - .offset:         28
        .size:           4
        .value_kind:     by_value
      - .offset:         32
        .size:           4
        .value_kind:     by_value
      - .offset:         36
        .size:           4
        .value_kind:     by_value
      - .offset:         40
        .size:           12
        .value_kind:     by_value
      - .offset:         52
        .size:           12
        .value_kind:     by_value
      - .offset:         64
        .size:           12
        .value_kind:     by_value
    .group_segment_fixed_size: 0
    .kernarg_segment_align: 8
    .kernarg_segment_size: 76
    .language:       OpenCL C
    .language_version:
      - 2
      - 0
    .max_flat_workgroup_size: 128
    .name:           _ZL33flash_attn_stream_k_fixup_uniformILi128ELi1ELi8EEvPfPK15HIP_vector_typeIfLj2EEiiiiiiS1_IjLj3EES5_S5_
    .private_segment_fixed_size: 0
    .sgpr_count:     22
    .sgpr_spill_count: 0
    .symbol:         _ZL33flash_attn_stream_k_fixup_uniformILi128ELi1ELi8EEvPfPK15HIP_vector_typeIfLj2EEiiiiiiS1_IjLj3EES5_S5_.kd
    .uniform_work_group_size: 1
    .uses_dynamic_stack: false
    .vgpr_count:     11
    .vgpr_spill_count: 0
    .wavefront_size: 32
    .workgroup_processor_mode: 1
  - .args:
      - .address_space:  global
        .offset:         0
        .size:           8
        .value_kind:     global_buffer
      - .address_space:  global
        .offset:         8
        .size:           8
        .value_kind:     global_buffer
      - .offset:         16
        .size:           4
        .value_kind:     by_value
      - .offset:         20
        .size:           4
        .value_kind:     by_value
      - .offset:         24
        .size:           4
        .value_kind:     by_value
      - .offset:         28
        .size:           4
        .value_kind:     by_value
      - .offset:         32
        .size:           12
        .value_kind:     by_value
      - .offset:         44
        .size:           12
        .value_kind:     by_value
      - .offset:         56
        .size:           12
        .value_kind:     by_value
      - .offset:         68
        .size:           12
        .value_kind:     by_value
      - .offset:         80
        .size:           4
        .value_kind:     hidden_block_count_x
      - .offset:         84
        .size:           4
        .value_kind:     hidden_block_count_y
      - .offset:         88
        .size:           4
        .value_kind:     hidden_block_count_z
      - .offset:         92
        .size:           2
        .value_kind:     hidden_group_size_x
      - .offset:         94
        .size:           2
        .value_kind:     hidden_group_size_y
      - .offset:         96
        .size:           2
        .value_kind:     hidden_group_size_z
      - .offset:         98
        .size:           2
        .value_kind:     hidden_remainder_x
      - .offset:         100
        .size:           2
        .value_kind:     hidden_remainder_y
      - .offset:         102
        .size:           2
        .value_kind:     hidden_remainder_z
      - .offset:         120
        .size:           8
        .value_kind:     hidden_global_offset_x
      - .offset:         128
        .size:           8
        .value_kind:     hidden_global_offset_y
      - .offset:         136
        .size:           8
        .value_kind:     hidden_global_offset_z
      - .offset:         144
        .size:           2
        .value_kind:     hidden_grid_dims
    .group_segment_fixed_size: 0
    .kernarg_segment_align: 8
    .kernarg_segment_size: 336
    .language:       OpenCL C
    .language_version:
      - 2
      - 0
    .max_flat_workgroup_size: 128
    .name:           _ZL33flash_attn_stream_k_fixup_generalILi128ELi1ELi8EEvPfPK15HIP_vector_typeIfLj2EEiiiiS1_IjLj3EES5_S5_S5_
    .private_segment_fixed_size: 0
    .sgpr_count:     46
    .sgpr_spill_count: 0
    .symbol:         _ZL33flash_attn_stream_k_fixup_generalILi128ELi1ELi8EEvPfPK15HIP_vector_typeIfLj2EEiiiiS1_IjLj3EES5_S5_S5_.kd
    .uniform_work_group_size: 1
    .uses_dynamic_stack: false
    .vgpr_count:     9
    .vgpr_spill_count: 0
    .wavefront_size: 32
    .workgroup_processor_mode: 1
  - .args:
      - .address_space:  global
        .offset:         0
        .size:           8
        .value_kind:     global_buffer
      - .address_space:  global
        .offset:         8
        .size:           8
        .value_kind:     global_buffer
      - .address_space:  global
        .offset:         16
        .size:           8
        .value_kind:     global_buffer
      - .address_space:  global
        .offset:         24
        .size:           8
        .value_kind:     global_buffer
      - .address_space:  global
        .offset:         32
        .size:           8
        .value_kind:     global_buffer
      - .address_space:  global
        .offset:         40
        .size:           8
        .value_kind:     global_buffer
      - .address_space:  global
        .offset:         48
        .size:           8
        .value_kind:     global_buffer
      - .address_space:  global
        .offset:         56
        .size:           8
        .value_kind:     global_buffer
      - .offset:         64
        .size:           4
        .value_kind:     by_value
      - .offset:         68
        .size:           4
        .value_kind:     by_value
      - .offset:         72
        .size:           4
        .value_kind:     by_value
      - .offset:         76
        .size:           4
        .value_kind:     by_value
      - .offset:         80
        .size:           4
        .value_kind:     by_value
      - .offset:         84
        .size:           4
        .value_kind:     by_value
      - .offset:         88
        .size:           4
        .value_kind:     by_value
      - .offset:         92
        .size:           12
        .value_kind:     by_value
      - .offset:         104
        .size:           4
        .value_kind:     by_value
      - .offset:         108
        .size:           4
        .value_kind:     by_value
      - .offset:         112
        .size:           4
        .value_kind:     by_value
      - .offset:         116
        .size:           4
        .value_kind:     by_value
      - .offset:         120
        .size:           4
        .value_kind:     by_value
      - .offset:         124
        .size:           4
        .value_kind:     by_value
      - .offset:         128
        .size:           4
        .value_kind:     by_value
      - .offset:         132
        .size:           4
        .value_kind:     by_value
      - .offset:         136
        .size:           4
        .value_kind:     by_value
      - .offset:         140
        .size:           4
        .value_kind:     by_value
      - .offset:         144
        .size:           4
        .value_kind:     by_value
      - .offset:         152
        .size:           8
        .value_kind:     by_value
      - .offset:         160
        .size:           4
        .value_kind:     by_value
      - .offset:         164
        .size:           4
        .value_kind:     by_value
      - .offset:         168
        .size:           8
        .value_kind:     by_value
      - .offset:         176
        .size:           4
        .value_kind:     by_value
      - .offset:         180
        .size:           4
        .value_kind:     by_value
      - .offset:         184
        .size:           4
        .value_kind:     by_value
      - .offset:         188
        .size:           4
        .value_kind:     by_value
      - .offset:         192
        .size:           4
        .value_kind:     by_value
      - .offset:         200
        .size:           8
        .value_kind:     by_value
      - .offset:         208
        .size:           4
        .value_kind:     hidden_block_count_x
      - .offset:         212
        .size:           4
        .value_kind:     hidden_block_count_y
      - .offset:         216
        .size:           4
        .value_kind:     hidden_block_count_z
      - .offset:         220
        .size:           2
        .value_kind:     hidden_group_size_x
      - .offset:         222
        .size:           2
        .value_kind:     hidden_group_size_y
      - .offset:         224
        .size:           2
        .value_kind:     hidden_group_size_z
      - .offset:         226
        .size:           2
        .value_kind:     hidden_remainder_x
      - .offset:         228
        .size:           2
        .value_kind:     hidden_remainder_y
      - .offset:         230
        .size:           2
        .value_kind:     hidden_remainder_z
      - .offset:         248
        .size:           8
        .value_kind:     hidden_global_offset_x
      - .offset:         256
        .size:           8
        .value_kind:     hidden_global_offset_y
      - .offset:         264
        .size:           8
        .value_kind:     hidden_global_offset_z
      - .offset:         272
        .size:           2
        .value_kind:     hidden_grid_dims
    .group_segment_fixed_size: 25600
    .kernarg_segment_align: 8
    .kernarg_segment_size: 464
    .language:       OpenCL C
    .language_version:
      - 2
      - 0
    .max_flat_workgroup_size: 256
    .name:           _ZL15flash_attn_tileILi192ELi128ELi2ELi16ELb1EEvPKcS1_S1_S1_S1_PKiPfP15HIP_vector_typeIfLj2EEffffjfiS5_IjLj3EEiiiiiiiiiiiliiliiiiil
    .private_segment_fixed_size: 0
    .sgpr_count:     45
    .sgpr_spill_count: 0
    .symbol:         _ZL15flash_attn_tileILi192ELi128ELi2ELi16ELb1EEvPKcS1_S1_S1_S1_PKiPfP15HIP_vector_typeIfLj2EEffffjfiS5_IjLj3EEiiiiiiiiiiiliiliiiiil.kd
    .uniform_work_group_size: 1
    .uses_dynamic_stack: false
    .vgpr_count:     147
    .vgpr_spill_count: 0
    .wavefront_size: 32
    .workgroup_processor_mode: 1
  - .args:
      - .address_space:  global
        .offset:         0
        .size:           8
        .value_kind:     global_buffer
      - .address_space:  global
        .offset:         8
        .size:           8
        .value_kind:     global_buffer
      - .address_space:  global
        .offset:         16
        .size:           8
        .value_kind:     global_buffer
      - .address_space:  global
        .offset:         24
        .size:           8
        .value_kind:     global_buffer
      - .address_space:  global
        .offset:         32
        .size:           8
        .value_kind:     global_buffer
      - .address_space:  global
        .offset:         40
        .size:           8
        .value_kind:     global_buffer
      - .address_space:  global
        .offset:         48
        .size:           8
        .value_kind:     global_buffer
      - .address_space:  global
        .offset:         56
        .size:           8
        .value_kind:     global_buffer
      - .offset:         64
        .size:           4
        .value_kind:     by_value
      - .offset:         68
        .size:           4
        .value_kind:     by_value
      - .offset:         72
        .size:           4
        .value_kind:     by_value
      - .offset:         76
        .size:           4
        .value_kind:     by_value
      - .offset:         80
        .size:           4
        .value_kind:     by_value
      - .offset:         84
        .size:           4
        .value_kind:     by_value
      - .offset:         88
        .size:           4
        .value_kind:     by_value
      - .offset:         92
        .size:           12
        .value_kind:     by_value
      - .offset:         104
        .size:           4
        .value_kind:     by_value
      - .offset:         108
        .size:           4
        .value_kind:     by_value
      - .offset:         112
        .size:           4
        .value_kind:     by_value
      - .offset:         116
        .size:           4
        .value_kind:     by_value
      - .offset:         120
        .size:           4
        .value_kind:     by_value
      - .offset:         124
        .size:           4
        .value_kind:     by_value
      - .offset:         128
        .size:           4
        .value_kind:     by_value
      - .offset:         132
        .size:           4
        .value_kind:     by_value
      - .offset:         136
        .size:           4
        .value_kind:     by_value
      - .offset:         140
        .size:           4
        .value_kind:     by_value
      - .offset:         144
        .size:           4
        .value_kind:     by_value
      - .offset:         152
        .size:           8
        .value_kind:     by_value
      - .offset:         160
        .size:           4
        .value_kind:     by_value
      - .offset:         164
        .size:           4
        .value_kind:     by_value
      - .offset:         168
        .size:           8
        .value_kind:     by_value
      - .offset:         176
        .size:           4
        .value_kind:     by_value
      - .offset:         180
        .size:           4
        .value_kind:     by_value
      - .offset:         184
        .size:           4
        .value_kind:     by_value
      - .offset:         188
        .size:           4
        .value_kind:     by_value
      - .offset:         192
        .size:           4
        .value_kind:     by_value
      - .offset:         200
        .size:           8
        .value_kind:     by_value
      - .offset:         208
        .size:           4
        .value_kind:     hidden_block_count_x
      - .offset:         212
        .size:           4
        .value_kind:     hidden_block_count_y
      - .offset:         216
        .size:           4
        .value_kind:     hidden_block_count_z
      - .offset:         220
        .size:           2
        .value_kind:     hidden_group_size_x
      - .offset:         222
        .size:           2
        .value_kind:     hidden_group_size_y
      - .offset:         224
        .size:           2
        .value_kind:     hidden_group_size_z
      - .offset:         226
        .size:           2
        .value_kind:     hidden_remainder_x
      - .offset:         228
        .size:           2
        .value_kind:     hidden_remainder_y
      - .offset:         230
        .size:           2
        .value_kind:     hidden_remainder_z
      - .offset:         248
        .size:           8
        .value_kind:     hidden_global_offset_x
      - .offset:         256
        .size:           8
        .value_kind:     hidden_global_offset_y
      - .offset:         264
        .size:           8
        .value_kind:     hidden_global_offset_z
      - .offset:         272
        .size:           2
        .value_kind:     hidden_grid_dims
    .group_segment_fixed_size: 11776
    .kernarg_segment_align: 8
    .kernarg_segment_size: 464
    .language:       OpenCL C
    .language_version:
      - 2
      - 0
    .max_flat_workgroup_size: 256
    .name:           _ZL15flash_attn_tileILi192ELi128ELi1ELi16ELb1EEvPKcS1_S1_S1_S1_PKiPfP15HIP_vector_typeIfLj2EEffffjfiS5_IjLj3EEiiiiiiiiiiiliiliiiiil
    .private_segment_fixed_size: 0
    .sgpr_count:     45
    .sgpr_spill_count: 0
    .symbol:         _ZL15flash_attn_tileILi192ELi128ELi1ELi16ELb1EEvPKcS1_S1_S1_S1_PKiPfP15HIP_vector_typeIfLj2EEffffjfiS5_IjLj3EEiiiiiiiiiiiliiliiiiil.kd
    .uniform_work_group_size: 1
    .uses_dynamic_stack: false
    .vgpr_count:     103
    .vgpr_spill_count: 0
    .wavefront_size: 32
    .workgroup_processor_mode: 1
  - .args:
      - .address_space:  global
        .offset:         0
        .size:           8
        .value_kind:     global_buffer
      - .address_space:  global
        .offset:         8
        .size:           8
        .value_kind:     global_buffer
      - .address_space:  global
        .offset:         16
        .size:           8
        .value_kind:     global_buffer
      - .address_space:  global
        .offset:         24
        .size:           8
        .value_kind:     global_buffer
      - .address_space:  global
        .offset:         32
        .size:           8
        .value_kind:     global_buffer
      - .address_space:  global
        .offset:         40
        .size:           8
        .value_kind:     global_buffer
      - .address_space:  global
        .offset:         48
        .size:           8
        .value_kind:     global_buffer
      - .address_space:  global
        .offset:         56
        .size:           8
        .value_kind:     global_buffer
      - .offset:         64
        .size:           4
        .value_kind:     by_value
      - .offset:         68
        .size:           4
        .value_kind:     by_value
      - .offset:         72
        .size:           4
        .value_kind:     by_value
      - .offset:         76
        .size:           4
        .value_kind:     by_value
      - .offset:         80
        .size:           4
        .value_kind:     by_value
      - .offset:         84
        .size:           4
        .value_kind:     by_value
      - .offset:         88
        .size:           4
        .value_kind:     by_value
      - .offset:         92
        .size:           12
        .value_kind:     by_value
      - .offset:         104
        .size:           4
        .value_kind:     by_value
      - .offset:         108
        .size:           4
        .value_kind:     by_value
      - .offset:         112
        .size:           4
        .value_kind:     by_value
      - .offset:         116
        .size:           4
        .value_kind:     by_value
      - .offset:         120
        .size:           4
        .value_kind:     by_value
      - .offset:         124
        .size:           4
        .value_kind:     by_value
      - .offset:         128
        .size:           4
        .value_kind:     by_value
      - .offset:         132
        .size:           4
        .value_kind:     by_value
      - .offset:         136
        .size:           4
        .value_kind:     by_value
      - .offset:         140
        .size:           4
        .value_kind:     by_value
      - .offset:         144
        .size:           4
        .value_kind:     by_value
      - .offset:         152
        .size:           8
        .value_kind:     by_value
      - .offset:         160
        .size:           4
        .value_kind:     by_value
      - .offset:         164
        .size:           4
        .value_kind:     by_value
      - .offset:         168
        .size:           8
        .value_kind:     by_value
      - .offset:         176
        .size:           4
        .value_kind:     by_value
      - .offset:         180
        .size:           4
        .value_kind:     by_value
      - .offset:         184
        .size:           4
        .value_kind:     by_value
      - .offset:         188
        .size:           4
        .value_kind:     by_value
      - .offset:         192
        .size:           4
        .value_kind:     by_value
      - .offset:         200
        .size:           8
        .value_kind:     by_value
      - .offset:         208
        .size:           4
        .value_kind:     hidden_block_count_x
      - .offset:         212
        .size:           4
        .value_kind:     hidden_block_count_y
      - .offset:         216
        .size:           4
        .value_kind:     hidden_block_count_z
      - .offset:         220
        .size:           2
        .value_kind:     hidden_group_size_x
      - .offset:         222
        .size:           2
        .value_kind:     hidden_group_size_y
      - .offset:         224
        .size:           2
        .value_kind:     hidden_group_size_z
      - .offset:         226
        .size:           2
        .value_kind:     hidden_remainder_x
      - .offset:         228
        .size:           2
        .value_kind:     hidden_remainder_y
      - .offset:         230
        .size:           2
        .value_kind:     hidden_remainder_z
      - .offset:         248
        .size:           8
        .value_kind:     hidden_global_offset_x
      - .offset:         256
        .size:           8
        .value_kind:     hidden_global_offset_y
      - .offset:         264
        .size:           8
        .value_kind:     hidden_global_offset_z
      - .offset:         272
        .size:           2
        .value_kind:     hidden_grid_dims
    .group_segment_fixed_size: 25600
    .kernarg_segment_align: 8
    .kernarg_segment_size: 464
    .language:       OpenCL C
    .language_version:
      - 2
      - 0
    .max_flat_workgroup_size: 256
    .name:           _ZL15flash_attn_tileILi192ELi128ELi4ELi8ELb1EEvPKcS1_S1_S1_S1_PKiPfP15HIP_vector_typeIfLj2EEffffjfiS5_IjLj3EEiiiiiiiiiiiliiliiiiil
    .private_segment_fixed_size: 0
    .sgpr_count:     45
    .sgpr_spill_count: 0
    .symbol:         _ZL15flash_attn_tileILi192ELi128ELi4ELi8ELb1EEvPKcS1_S1_S1_S1_PKiPfP15HIP_vector_typeIfLj2EEffffjfiS5_IjLj3EEiiiiiiiiiiiliiliiiiil.kd
    .uniform_work_group_size: 1
    .uses_dynamic_stack: false
    .vgpr_count:     147
    .vgpr_spill_count: 0
    .wavefront_size: 32
    .workgroup_processor_mode: 1
  - .args:
      - .address_space:  global
        .offset:         0
        .size:           8
        .value_kind:     global_buffer
      - .address_space:  global
        .offset:         8
        .size:           8
        .value_kind:     global_buffer
      - .address_space:  global
        .offset:         16
        .size:           8
        .value_kind:     global_buffer
      - .address_space:  global
        .offset:         24
        .size:           8
        .value_kind:     global_buffer
      - .address_space:  global
        .offset:         32
        .size:           8
        .value_kind:     global_buffer
      - .address_space:  global
        .offset:         40
        .size:           8
        .value_kind:     global_buffer
      - .address_space:  global
        .offset:         48
        .size:           8
        .value_kind:     global_buffer
      - .address_space:  global
        .offset:         56
        .size:           8
        .value_kind:     global_buffer
      - .offset:         64
        .size:           4
        .value_kind:     by_value
      - .offset:         68
        .size:           4
        .value_kind:     by_value
      - .offset:         72
        .size:           4
        .value_kind:     by_value
      - .offset:         76
        .size:           4
        .value_kind:     by_value
      - .offset:         80
        .size:           4
        .value_kind:     by_value
      - .offset:         84
        .size:           4
        .value_kind:     by_value
      - .offset:         88
        .size:           4
        .value_kind:     by_value
      - .offset:         92
        .size:           12
        .value_kind:     by_value
      - .offset:         104
        .size:           4
        .value_kind:     by_value
      - .offset:         108
        .size:           4
        .value_kind:     by_value
      - .offset:         112
        .size:           4
        .value_kind:     by_value
      - .offset:         116
        .size:           4
        .value_kind:     by_value
      - .offset:         120
        .size:           4
        .value_kind:     by_value
      - .offset:         124
        .size:           4
        .value_kind:     by_value
      - .offset:         128
        .size:           4
        .value_kind:     by_value
      - .offset:         132
        .size:           4
        .value_kind:     by_value
      - .offset:         136
        .size:           4
        .value_kind:     by_value
      - .offset:         140
        .size:           4
        .value_kind:     by_value
      - .offset:         144
        .size:           4
        .value_kind:     by_value
      - .offset:         152
        .size:           8
        .value_kind:     by_value
      - .offset:         160
        .size:           4
        .value_kind:     by_value
      - .offset:         164
        .size:           4
        .value_kind:     by_value
      - .offset:         168
        .size:           8
        .value_kind:     by_value
      - .offset:         176
        .size:           4
        .value_kind:     by_value
      - .offset:         180
        .size:           4
        .value_kind:     by_value
      - .offset:         184
        .size:           4
        .value_kind:     by_value
      - .offset:         188
        .size:           4
        .value_kind:     by_value
      - .offset:         192
        .size:           4
        .value_kind:     by_value
      - .offset:         200
        .size:           8
        .value_kind:     by_value
      - .offset:         208
        .size:           4
        .value_kind:     hidden_block_count_x
      - .offset:         212
        .size:           4
        .value_kind:     hidden_block_count_y
      - .offset:         216
        .size:           4
        .value_kind:     hidden_block_count_z
      - .offset:         220
        .size:           2
        .value_kind:     hidden_group_size_x
      - .offset:         222
        .size:           2
        .value_kind:     hidden_group_size_y
      - .offset:         224
        .size:           2
        .value_kind:     hidden_group_size_z
      - .offset:         226
        .size:           2
        .value_kind:     hidden_remainder_x
      - .offset:         228
        .size:           2
        .value_kind:     hidden_remainder_y
      - .offset:         230
        .size:           2
        .value_kind:     hidden_remainder_z
      - .offset:         248
        .size:           8
        .value_kind:     hidden_global_offset_x
      - .offset:         256
        .size:           8
        .value_kind:     hidden_global_offset_y
      - .offset:         264
        .size:           8
        .value_kind:     hidden_global_offset_z
      - .offset:         272
        .size:           2
        .value_kind:     hidden_grid_dims
    .group_segment_fixed_size: 11776
    .kernarg_segment_align: 8
    .kernarg_segment_size: 464
    .language:       OpenCL C
    .language_version:
      - 2
      - 0
    .max_flat_workgroup_size: 256
    .name:           _ZL15flash_attn_tileILi192ELi128ELi2ELi8ELb1EEvPKcS1_S1_S1_S1_PKiPfP15HIP_vector_typeIfLj2EEffffjfiS5_IjLj3EEiiiiiiiiiiiliiliiiiil
    .private_segment_fixed_size: 0
    .sgpr_count:     45
    .sgpr_spill_count: 0
    .symbol:         _ZL15flash_attn_tileILi192ELi128ELi2ELi8ELb1EEvPKcS1_S1_S1_S1_PKiPfP15HIP_vector_typeIfLj2EEffffjfiS5_IjLj3EEiiiiiiiiiiiliiliiiiil.kd
    .uniform_work_group_size: 1
    .uses_dynamic_stack: false
    .vgpr_count:     103
    .vgpr_spill_count: 0
    .wavefront_size: 32
    .workgroup_processor_mode: 1
  - .args:
      - .address_space:  global
        .offset:         0
        .size:           8
        .value_kind:     global_buffer
      - .address_space:  global
        .offset:         8
        .size:           8
        .value_kind:     global_buffer
      - .address_space:  global
        .offset:         16
        .size:           8
        .value_kind:     global_buffer
      - .address_space:  global
        .offset:         24
        .size:           8
        .value_kind:     global_buffer
      - .address_space:  global
        .offset:         32
        .size:           8
        .value_kind:     global_buffer
      - .address_space:  global
        .offset:         40
        .size:           8
        .value_kind:     global_buffer
      - .address_space:  global
        .offset:         48
        .size:           8
        .value_kind:     global_buffer
      - .address_space:  global
        .offset:         56
        .size:           8
        .value_kind:     global_buffer
      - .offset:         64
        .size:           4
        .value_kind:     by_value
      - .offset:         68
        .size:           4
        .value_kind:     by_value
      - .offset:         72
        .size:           4
        .value_kind:     by_value
      - .offset:         76
        .size:           4
        .value_kind:     by_value
      - .offset:         80
        .size:           4
        .value_kind:     by_value
      - .offset:         84
        .size:           4
        .value_kind:     by_value
      - .offset:         88
        .size:           4
        .value_kind:     by_value
      - .offset:         92
        .size:           12
        .value_kind:     by_value
      - .offset:         104
        .size:           4
        .value_kind:     by_value
      - .offset:         108
        .size:           4
        .value_kind:     by_value
      - .offset:         112
        .size:           4
        .value_kind:     by_value
      - .offset:         116
        .size:           4
        .value_kind:     by_value
      - .offset:         120
        .size:           4
        .value_kind:     by_value
      - .offset:         124
        .size:           4
        .value_kind:     by_value
      - .offset:         128
        .size:           4
        .value_kind:     by_value
      - .offset:         132
        .size:           4
        .value_kind:     by_value
      - .offset:         136
        .size:           4
        .value_kind:     by_value
      - .offset:         140
        .size:           4
        .value_kind:     by_value
      - .offset:         144
        .size:           4
        .value_kind:     by_value
      - .offset:         152
        .size:           8
        .value_kind:     by_value
      - .offset:         160
        .size:           4
        .value_kind:     by_value
      - .offset:         164
        .size:           4
        .value_kind:     by_value
      - .offset:         168
        .size:           8
        .value_kind:     by_value
      - .offset:         176
        .size:           4
        .value_kind:     by_value
      - .offset:         180
        .size:           4
        .value_kind:     by_value
      - .offset:         184
        .size:           4
        .value_kind:     by_value
      - .offset:         188
        .size:           4
        .value_kind:     by_value
      - .offset:         192
        .size:           4
        .value_kind:     by_value
      - .offset:         200
        .size:           8
        .value_kind:     by_value
      - .offset:         208
        .size:           4
        .value_kind:     hidden_block_count_x
      - .offset:         212
        .size:           4
        .value_kind:     hidden_block_count_y
      - .offset:         216
        .size:           4
        .value_kind:     hidden_block_count_z
      - .offset:         220
        .size:           2
        .value_kind:     hidden_group_size_x
      - .offset:         222
        .size:           2
        .value_kind:     hidden_group_size_y
      - .offset:         224
        .size:           2
        .value_kind:     hidden_group_size_z
      - .offset:         226
        .size:           2
        .value_kind:     hidden_remainder_x
      - .offset:         228
        .size:           2
        .value_kind:     hidden_remainder_y
      - .offset:         230
        .size:           2
        .value_kind:     hidden_remainder_z
      - .offset:         248
        .size:           8
        .value_kind:     hidden_global_offset_x
      - .offset:         256
        .size:           8
        .value_kind:     hidden_global_offset_y
      - .offset:         264
        .size:           8
        .value_kind:     hidden_global_offset_z
      - .offset:         272
        .size:           2
        .value_kind:     hidden_grid_dims
    .group_segment_fixed_size: 8192
    .kernarg_segment_align: 8
    .kernarg_segment_size: 464
    .language:       OpenCL C
    .language_version:
      - 2
      - 0
    .max_flat_workgroup_size: 128
    .name:           _ZL15flash_attn_tileILi192ELi128ELi1ELi8ELb1EEvPKcS1_S1_S1_S1_PKiPfP15HIP_vector_typeIfLj2EEffffjfiS5_IjLj3EEiiiiiiiiiiiliiliiiiil
    .private_segment_fixed_size: 0
    .sgpr_count:     45
    .sgpr_spill_count: 0
    .symbol:         _ZL15flash_attn_tileILi192ELi128ELi1ELi8ELb1EEvPKcS1_S1_S1_S1_PKiPfP15HIP_vector_typeIfLj2EEffffjfiS5_IjLj3EEiiiiiiiiiiiliiliiiiil.kd
    .uniform_work_group_size: 1
    .uses_dynamic_stack: false
    .vgpr_count:     114
    .vgpr_spill_count: 0
    .wavefront_size: 32
    .workgroup_processor_mode: 1
amdhsa.target:   amdgcn-amd-amdhsa--gfx1201
amdhsa.version:
  - 1
  - 2
...

	.end_amdgpu_metadata
